;; amdgpu-corpus repo=ROCm/rocFFT kind=compiled arch=gfx1201 opt=O3
	.text
	.amdgcn_target "amdgcn-amd-amdhsa--gfx1201"
	.amdhsa_code_object_version 6
	.protected	fft_rtc_fwd_len1960_factors_4_7_2_7_5_wgs_56_tpt_56_halfLds_dp_op_CI_CI_unitstride_sbrr_R2C_dirReg ; -- Begin function fft_rtc_fwd_len1960_factors_4_7_2_7_5_wgs_56_tpt_56_halfLds_dp_op_CI_CI_unitstride_sbrr_R2C_dirReg
	.globl	fft_rtc_fwd_len1960_factors_4_7_2_7_5_wgs_56_tpt_56_halfLds_dp_op_CI_CI_unitstride_sbrr_R2C_dirReg
	.p2align	8
	.type	fft_rtc_fwd_len1960_factors_4_7_2_7_5_wgs_56_tpt_56_halfLds_dp_op_CI_CI_unitstride_sbrr_R2C_dirReg,@function
fft_rtc_fwd_len1960_factors_4_7_2_7_5_wgs_56_tpt_56_halfLds_dp_op_CI_CI_unitstride_sbrr_R2C_dirReg: ; @fft_rtc_fwd_len1960_factors_4_7_2_7_5_wgs_56_tpt_56_halfLds_dp_op_CI_CI_unitstride_sbrr_R2C_dirReg
; %bb.0:
	s_clause 0x2
	s_load_b128 s[8:11], s[0:1], 0x0
	s_load_b128 s[4:7], s[0:1], 0x58
	;; [unrolled: 1-line block ×3, first 2 shown]
	v_mul_u32_u24_e32 v1, 0x493, v0
	v_mov_b32_e32 v3, 0
	s_delay_alu instid0(VALU_DEP_2) | instskip(NEXT) | instid1(VALU_DEP_1)
	v_lshrrev_b32_e32 v1, 16, v1
	v_add_nc_u32_e32 v5, ttmp9, v1
	v_mov_b32_e32 v1, 0
	v_mov_b32_e32 v2, 0
	;; [unrolled: 1-line block ×3, first 2 shown]
	s_wait_kmcnt 0x0
	v_cmp_lt_u64_e64 s2, s[10:11], 2
	s_delay_alu instid0(VALU_DEP_1)
	s_and_b32 vcc_lo, exec_lo, s2
	s_cbranch_vccnz .LBB0_8
; %bb.1:
	s_load_b64 s[2:3], s[0:1], 0x10
	v_mov_b32_e32 v1, 0
	v_mov_b32_e32 v2, 0
	s_add_nc_u64 s[16:17], s[14:15], 8
	s_add_nc_u64 s[18:19], s[12:13], 8
	s_mov_b64 s[20:21], 1
	s_delay_alu instid0(VALU_DEP_1)
	v_dual_mov_b32 v147, v2 :: v_dual_mov_b32 v146, v1
	s_wait_kmcnt 0x0
	s_add_nc_u64 s[22:23], s[2:3], 8
	s_mov_b32 s3, 0
.LBB0_2:                                ; =>This Inner Loop Header: Depth=1
	s_load_b64 s[24:25], s[22:23], 0x0
                                        ; implicit-def: $vgpr148_vgpr149
	s_mov_b32 s2, exec_lo
	s_wait_kmcnt 0x0
	v_or_b32_e32 v4, s25, v6
	s_delay_alu instid0(VALU_DEP_1)
	v_cmpx_ne_u64_e32 0, v[3:4]
	s_wait_alu 0xfffe
	s_xor_b32 s26, exec_lo, s2
	s_cbranch_execz .LBB0_4
; %bb.3:                                ;   in Loop: Header=BB0_2 Depth=1
	s_cvt_f32_u32 s2, s24
	s_cvt_f32_u32 s27, s25
	s_sub_nc_u64 s[30:31], 0, s[24:25]
	s_wait_alu 0xfffe
	s_delay_alu instid0(SALU_CYCLE_1) | instskip(SKIP_1) | instid1(SALU_CYCLE_2)
	s_fmamk_f32 s2, s27, 0x4f800000, s2
	s_wait_alu 0xfffe
	v_s_rcp_f32 s2, s2
	s_delay_alu instid0(TRANS32_DEP_1) | instskip(SKIP_1) | instid1(SALU_CYCLE_2)
	s_mul_f32 s2, s2, 0x5f7ffffc
	s_wait_alu 0xfffe
	s_mul_f32 s27, s2, 0x2f800000
	s_wait_alu 0xfffe
	s_delay_alu instid0(SALU_CYCLE_2) | instskip(SKIP_1) | instid1(SALU_CYCLE_2)
	s_trunc_f32 s27, s27
	s_wait_alu 0xfffe
	s_fmamk_f32 s2, s27, 0xcf800000, s2
	s_cvt_u32_f32 s29, s27
	s_wait_alu 0xfffe
	s_delay_alu instid0(SALU_CYCLE_1) | instskip(SKIP_1) | instid1(SALU_CYCLE_2)
	s_cvt_u32_f32 s28, s2
	s_wait_alu 0xfffe
	s_mul_u64 s[34:35], s[30:31], s[28:29]
	s_wait_alu 0xfffe
	s_mul_hi_u32 s37, s28, s35
	s_mul_i32 s36, s28, s35
	s_mul_hi_u32 s2, s28, s34
	s_mul_i32 s33, s29, s34
	s_wait_alu 0xfffe
	s_add_nc_u64 s[36:37], s[2:3], s[36:37]
	s_mul_hi_u32 s27, s29, s34
	s_mul_hi_u32 s38, s29, s35
	s_add_co_u32 s2, s36, s33
	s_wait_alu 0xfffe
	s_add_co_ci_u32 s2, s37, s27
	s_mul_i32 s34, s29, s35
	s_add_co_ci_u32 s35, s38, 0
	s_wait_alu 0xfffe
	s_add_nc_u64 s[34:35], s[2:3], s[34:35]
	s_wait_alu 0xfffe
	v_add_co_u32 v4, s2, s28, s34
	s_delay_alu instid0(VALU_DEP_1) | instskip(SKIP_1) | instid1(VALU_DEP_1)
	s_cmp_lg_u32 s2, 0
	s_add_co_ci_u32 s29, s29, s35
	v_readfirstlane_b32 s28, v4
	s_wait_alu 0xfffe
	s_delay_alu instid0(VALU_DEP_1)
	s_mul_u64 s[30:31], s[30:31], s[28:29]
	s_wait_alu 0xfffe
	s_mul_hi_u32 s35, s28, s31
	s_mul_i32 s34, s28, s31
	s_mul_hi_u32 s2, s28, s30
	s_mul_i32 s33, s29, s30
	s_wait_alu 0xfffe
	s_add_nc_u64 s[34:35], s[2:3], s[34:35]
	s_mul_hi_u32 s27, s29, s30
	s_mul_hi_u32 s28, s29, s31
	s_wait_alu 0xfffe
	s_add_co_u32 s2, s34, s33
	s_add_co_ci_u32 s2, s35, s27
	s_mul_i32 s30, s29, s31
	s_add_co_ci_u32 s31, s28, 0
	s_wait_alu 0xfffe
	s_add_nc_u64 s[30:31], s[2:3], s[30:31]
	s_wait_alu 0xfffe
	v_add_co_u32 v4, s2, v4, s30
	s_delay_alu instid0(VALU_DEP_1) | instskip(SKIP_1) | instid1(VALU_DEP_1)
	s_cmp_lg_u32 s2, 0
	s_add_co_ci_u32 s2, s29, s31
	v_mul_hi_u32 v13, v5, v4
	s_wait_alu 0xfffe
	v_mad_co_u64_u32 v[7:8], null, v5, s2, 0
	v_mad_co_u64_u32 v[9:10], null, v6, v4, 0
	;; [unrolled: 1-line block ×3, first 2 shown]
	s_delay_alu instid0(VALU_DEP_3) | instskip(SKIP_1) | instid1(VALU_DEP_4)
	v_add_co_u32 v4, vcc_lo, v13, v7
	s_wait_alu 0xfffd
	v_add_co_ci_u32_e32 v7, vcc_lo, 0, v8, vcc_lo
	s_delay_alu instid0(VALU_DEP_2) | instskip(SKIP_1) | instid1(VALU_DEP_2)
	v_add_co_u32 v4, vcc_lo, v4, v9
	s_wait_alu 0xfffd
	v_add_co_ci_u32_e32 v4, vcc_lo, v7, v10, vcc_lo
	s_wait_alu 0xfffd
	v_add_co_ci_u32_e32 v7, vcc_lo, 0, v12, vcc_lo
	s_delay_alu instid0(VALU_DEP_2) | instskip(SKIP_1) | instid1(VALU_DEP_2)
	v_add_co_u32 v4, vcc_lo, v4, v11
	s_wait_alu 0xfffd
	v_add_co_ci_u32_e32 v9, vcc_lo, 0, v7, vcc_lo
	s_delay_alu instid0(VALU_DEP_2) | instskip(SKIP_1) | instid1(VALU_DEP_3)
	v_mul_lo_u32 v10, s25, v4
	v_mad_co_u64_u32 v[7:8], null, s24, v4, 0
	v_mul_lo_u32 v11, s24, v9
	s_delay_alu instid0(VALU_DEP_2) | instskip(NEXT) | instid1(VALU_DEP_2)
	v_sub_co_u32 v7, vcc_lo, v5, v7
	v_add3_u32 v8, v8, v11, v10
	s_delay_alu instid0(VALU_DEP_1) | instskip(SKIP_1) | instid1(VALU_DEP_1)
	v_sub_nc_u32_e32 v10, v6, v8
	s_wait_alu 0xfffd
	v_subrev_co_ci_u32_e64 v10, s2, s25, v10, vcc_lo
	v_add_co_u32 v11, s2, v4, 2
	s_wait_alu 0xf1ff
	v_add_co_ci_u32_e64 v12, s2, 0, v9, s2
	v_sub_co_u32 v13, s2, v7, s24
	v_sub_co_ci_u32_e32 v8, vcc_lo, v6, v8, vcc_lo
	s_wait_alu 0xf1ff
	v_subrev_co_ci_u32_e64 v10, s2, 0, v10, s2
	s_delay_alu instid0(VALU_DEP_3) | instskip(NEXT) | instid1(VALU_DEP_3)
	v_cmp_le_u32_e32 vcc_lo, s24, v13
	v_cmp_eq_u32_e64 s2, s25, v8
	s_wait_alu 0xfffd
	v_cndmask_b32_e64 v13, 0, -1, vcc_lo
	v_cmp_le_u32_e32 vcc_lo, s25, v10
	s_wait_alu 0xfffd
	v_cndmask_b32_e64 v14, 0, -1, vcc_lo
	v_cmp_le_u32_e32 vcc_lo, s24, v7
	;; [unrolled: 3-line block ×3, first 2 shown]
	s_wait_alu 0xfffd
	v_cndmask_b32_e64 v15, 0, -1, vcc_lo
	v_cmp_eq_u32_e32 vcc_lo, s25, v10
	s_wait_alu 0xf1ff
	s_delay_alu instid0(VALU_DEP_2)
	v_cndmask_b32_e64 v7, v15, v7, s2
	s_wait_alu 0xfffd
	v_cndmask_b32_e32 v10, v14, v13, vcc_lo
	v_add_co_u32 v13, vcc_lo, v4, 1
	s_wait_alu 0xfffd
	v_add_co_ci_u32_e32 v14, vcc_lo, 0, v9, vcc_lo
	s_delay_alu instid0(VALU_DEP_3) | instskip(SKIP_1) | instid1(VALU_DEP_2)
	v_cmp_ne_u32_e32 vcc_lo, 0, v10
	s_wait_alu 0xfffd
	v_cndmask_b32_e32 v8, v14, v12, vcc_lo
	v_cndmask_b32_e32 v10, v13, v11, vcc_lo
	v_cmp_ne_u32_e32 vcc_lo, 0, v7
	s_wait_alu 0xfffd
	s_delay_alu instid0(VALU_DEP_2)
	v_dual_cndmask_b32 v149, v9, v8 :: v_dual_cndmask_b32 v148, v4, v10
.LBB0_4:                                ;   in Loop: Header=BB0_2 Depth=1
	s_wait_alu 0xfffe
	s_and_not1_saveexec_b32 s2, s26
	s_cbranch_execz .LBB0_6
; %bb.5:                                ;   in Loop: Header=BB0_2 Depth=1
	v_cvt_f32_u32_e32 v4, s24
	s_sub_co_i32 s26, 0, s24
	v_mov_b32_e32 v149, v3
	s_delay_alu instid0(VALU_DEP_2) | instskip(NEXT) | instid1(TRANS32_DEP_1)
	v_rcp_iflag_f32_e32 v4, v4
	v_mul_f32_e32 v4, 0x4f7ffffe, v4
	s_delay_alu instid0(VALU_DEP_1) | instskip(SKIP_1) | instid1(VALU_DEP_1)
	v_cvt_u32_f32_e32 v4, v4
	s_wait_alu 0xfffe
	v_mul_lo_u32 v7, s26, v4
	s_delay_alu instid0(VALU_DEP_1) | instskip(NEXT) | instid1(VALU_DEP_1)
	v_mul_hi_u32 v7, v4, v7
	v_add_nc_u32_e32 v4, v4, v7
	s_delay_alu instid0(VALU_DEP_1) | instskip(NEXT) | instid1(VALU_DEP_1)
	v_mul_hi_u32 v4, v5, v4
	v_mul_lo_u32 v7, v4, s24
	v_add_nc_u32_e32 v8, 1, v4
	s_delay_alu instid0(VALU_DEP_2) | instskip(NEXT) | instid1(VALU_DEP_1)
	v_sub_nc_u32_e32 v7, v5, v7
	v_subrev_nc_u32_e32 v9, s24, v7
	v_cmp_le_u32_e32 vcc_lo, s24, v7
	s_wait_alu 0xfffd
	s_delay_alu instid0(VALU_DEP_2) | instskip(NEXT) | instid1(VALU_DEP_1)
	v_dual_cndmask_b32 v7, v7, v9 :: v_dual_cndmask_b32 v4, v4, v8
	v_cmp_le_u32_e32 vcc_lo, s24, v7
	s_delay_alu instid0(VALU_DEP_2) | instskip(SKIP_1) | instid1(VALU_DEP_1)
	v_add_nc_u32_e32 v8, 1, v4
	s_wait_alu 0xfffd
	v_cndmask_b32_e32 v148, v4, v8, vcc_lo
.LBB0_6:                                ;   in Loop: Header=BB0_2 Depth=1
	s_wait_alu 0xfffe
	s_or_b32 exec_lo, exec_lo, s2
	v_mul_lo_u32 v4, v149, s24
	s_delay_alu instid0(VALU_DEP_2)
	v_mul_lo_u32 v9, v148, s25
	s_load_b64 s[26:27], s[18:19], 0x0
	v_mad_co_u64_u32 v[7:8], null, v148, s24, 0
	s_load_b64 s[24:25], s[16:17], 0x0
	s_add_nc_u64 s[20:21], s[20:21], 1
	s_add_nc_u64 s[16:17], s[16:17], 8
	s_wait_alu 0xfffe
	v_cmp_ge_u64_e64 s2, s[20:21], s[10:11]
	s_add_nc_u64 s[18:19], s[18:19], 8
	s_add_nc_u64 s[22:23], s[22:23], 8
	v_add3_u32 v4, v8, v9, v4
	v_sub_co_u32 v5, vcc_lo, v5, v7
	s_wait_alu 0xfffd
	s_delay_alu instid0(VALU_DEP_2) | instskip(SKIP_2) | instid1(VALU_DEP_1)
	v_sub_co_ci_u32_e32 v4, vcc_lo, v6, v4, vcc_lo
	s_and_b32 vcc_lo, exec_lo, s2
	s_wait_kmcnt 0x0
	v_mul_lo_u32 v6, s26, v4
	v_mul_lo_u32 v7, s27, v5
	v_mad_co_u64_u32 v[1:2], null, s26, v5, v[1:2]
	v_mul_lo_u32 v4, s24, v4
	v_mul_lo_u32 v8, s25, v5
	v_mad_co_u64_u32 v[146:147], null, s24, v5, v[146:147]
	s_delay_alu instid0(VALU_DEP_4) | instskip(NEXT) | instid1(VALU_DEP_2)
	v_add3_u32 v2, v7, v2, v6
	v_add3_u32 v147, v8, v147, v4
	s_wait_alu 0xfffe
	s_cbranch_vccnz .LBB0_9
; %bb.7:                                ;   in Loop: Header=BB0_2 Depth=1
	v_dual_mov_b32 v5, v148 :: v_dual_mov_b32 v6, v149
	s_branch .LBB0_2
.LBB0_8:
	v_dual_mov_b32 v147, v2 :: v_dual_mov_b32 v146, v1
	v_dual_mov_b32 v149, v6 :: v_dual_mov_b32 v148, v5
.LBB0_9:
	s_load_b64 s[0:1], s[0:1], 0x28
	v_mul_hi_u32 v3, 0x4924925, v0
	s_lshl_b64 s[10:11], s[10:11], 3
                                        ; implicit-def: $vgpr144
                                        ; implicit-def: $vgpr151
                                        ; implicit-def: $vgpr158
                                        ; implicit-def: $vgpr157
                                        ; implicit-def: $vgpr156
                                        ; implicit-def: $vgpr155
                                        ; implicit-def: $vgpr154
                                        ; implicit-def: $vgpr153
                                        ; implicit-def: $vgpr150
	s_wait_kmcnt 0x0
	v_cmp_gt_u64_e32 vcc_lo, s[0:1], v[148:149]
	v_cmp_le_u64_e64 s0, s[0:1], v[148:149]
	s_delay_alu instid0(VALU_DEP_1)
	s_and_saveexec_b32 s1, s0
	s_wait_alu 0xfffe
	s_xor_b32 s0, exec_lo, s1
; %bb.10:
	v_mul_u32_u24_e32 v1, 56, v3
                                        ; implicit-def: $vgpr3
	s_delay_alu instid0(VALU_DEP_1) | instskip(NEXT) | instid1(VALU_DEP_1)
	v_sub_nc_u32_e32 v144, v0, v1
                                        ; implicit-def: $vgpr0
                                        ; implicit-def: $vgpr1_vgpr2
	v_add_nc_u32_e32 v151, 56, v144
	v_add_nc_u32_e32 v158, 0x70, v144
	;; [unrolled: 1-line block ×7, first 2 shown]
	v_or_b32_e32 v150, 0x1c0, v144
; %bb.11:
	s_wait_alu 0xfffe
	s_or_saveexec_b32 s1, s0
	s_add_nc_u64 s[2:3], s[14:15], s[10:11]
	s_wait_alu 0xfffe
	s_xor_b32 exec_lo, exec_lo, s1
	s_cbranch_execz .LBB0_13
; %bb.12:
	s_add_nc_u64 s[10:11], s[12:13], s[10:11]
	v_lshlrev_b64_e32 v[1:2], 4, v[1:2]
	s_load_b64 s[10:11], s[10:11], 0x0
	s_wait_kmcnt 0x0
	v_mul_lo_u32 v6, s11, v148
	v_mul_lo_u32 v7, s10, v149
	v_mad_co_u64_u32 v[4:5], null, s10, v148, 0
	s_delay_alu instid0(VALU_DEP_1) | instskip(SKIP_1) | instid1(VALU_DEP_2)
	v_add3_u32 v5, v5, v7, v6
	v_mul_u32_u24_e32 v6, 56, v3
	v_lshlrev_b64_e32 v[3:4], 4, v[4:5]
	s_delay_alu instid0(VALU_DEP_2) | instskip(NEXT) | instid1(VALU_DEP_1)
	v_sub_nc_u32_e32 v144, v0, v6
	v_lshlrev_b32_e32 v140, 4, v144
	s_delay_alu instid0(VALU_DEP_3) | instskip(SKIP_1) | instid1(VALU_DEP_4)
	v_add_co_u32 v0, s0, s4, v3
	s_wait_alu 0xf1ff
	v_add_co_ci_u32_e64 v3, s0, s5, v4, s0
	v_add_nc_u32_e32 v151, 56, v144
	s_delay_alu instid0(VALU_DEP_3) | instskip(SKIP_1) | instid1(VALU_DEP_3)
	v_add_co_u32 v0, s0, v0, v1
	s_wait_alu 0xf1ff
	v_add_co_ci_u32_e64 v1, s0, v3, v2, s0
	v_add_nc_u32_e32 v158, 0x70, v144
	s_delay_alu instid0(VALU_DEP_3) | instskip(SKIP_1) | instid1(VALU_DEP_3)
	v_add_co_u32 v136, s0, v0, v140
	s_wait_alu 0xf1ff
	v_add_co_ci_u32_e64 v137, s0, 0, v1, s0
	s_clause 0x1f
	global_load_b128 v[0:3], v[136:137], off
	global_load_b128 v[4:7], v[136:137], off offset:896
	global_load_b128 v[8:11], v[136:137], off offset:1792
	;; [unrolled: 1-line block ×31, first 2 shown]
	s_clause 0x2
	global_load_b128 v[128:131], v[136:137], off offset:28672
	global_load_b128 v[132:135], v[136:137], off offset:29568
	;; [unrolled: 1-line block ×3, first 2 shown]
	v_add_nc_u32_e32 v157, 0xa8, v144
	v_add_nc_u32_e32 v156, 0xe0, v144
	;; [unrolled: 1-line block ×6, first 2 shown]
	v_or_b32_e32 v150, 0x1c0, v144
	s_wait_loadcnt 0x22
	ds_store_b128 v140, v[0:3]
	s_wait_loadcnt 0x21
	ds_store_b128 v140, v[4:7] offset:896
	s_wait_loadcnt 0x20
	ds_store_b128 v140, v[8:11] offset:1792
	;; [unrolled: 2-line block ×34, first 2 shown]
.LBB0_13:
	s_or_b32 exec_lo, exec_lo, s1
	v_lshl_add_u32 v163, v144, 4, 0
	s_load_b64 s[2:3], s[2:3], 0x0
	global_wb scope:SCOPE_SE
	s_wait_dscnt 0x0
	s_wait_kmcnt 0x0
	s_barrier_signal -1
	s_barrier_wait -1
	global_inv scope:SCOPE_SE
	ds_load_b128 v[16:19], v163 offset:15680
	ds_load_b128 v[8:11], v163
	ds_load_b128 v[0:3], v163 offset:896
	ds_load_b128 v[20:23], v163 offset:16576
	;; [unrolled: 1-line block ×28, first 2 shown]
	v_lshl_add_u32 v145, v155, 6, 0
	s_mov_b32 s1, exec_lo
	s_wait_dscnt 0x1c
	v_add_f64_e64 v[28:29], v[8:9], -v[16:17]
	v_add_f64_e64 v[30:31], v[10:11], -v[18:19]
	s_wait_dscnt 0x1a
	v_add_f64_e64 v[159:160], v[0:1], -v[20:21]
	v_add_f64_e64 v[161:162], v[2:3], -v[22:23]
	;; [unrolled: 3-line block ×3, first 2 shown]
	ds_load_b128 v[32:35], v163 offset:21056
	ds_load_b128 v[124:127], v163 offset:21952
	ds_load_b128 v[128:131], v163 offset:14112
	ds_load_b128 v[16:19], v163 offset:15008
	ds_load_b128 v[132:135], v163 offset:29792
	ds_load_b128 v[136:139], v163 offset:30688
	global_wb scope:SCOPE_SE
	s_wait_dscnt 0x0
	v_add_f64_e64 v[44:45], v[36:37], -v[44:45]
	v_add_f64_e64 v[46:47], v[38:39], -v[46:47]
	;; [unrolled: 1-line block ×26, first 2 shown]
	s_barrier_signal -1
	s_barrier_wait -1
	global_inv scope:SCOPE_SE
	v_fma_f64 v[8:9], v[8:9], 2.0, -v[28:29]
	v_fma_f64 v[10:11], v[10:11], 2.0, -v[30:31]
	;; [unrolled: 1-line block ×6, first 2 shown]
	v_add_f64_e64 v[20:21], v[28:29], -v[142:143]
	v_add_f64_e32 v[22:23], v[30:31], v[140:141]
	v_fma_f64 v[32:33], v[36:37], 2.0, -v[44:45]
	v_fma_f64 v[34:35], v[38:39], 2.0, -v[46:47]
	v_fma_f64 v[40:41], v[40:41], 2.0, -v[48:49]
	v_fma_f64 v[42:43], v[42:43], 2.0, -v[50:51]
	v_fma_f64 v[108:109], v[52:53], 2.0, -v[164:165]
	v_fma_f64 v[110:111], v[54:55], 2.0, -v[166:167]
	v_fma_f64 v[112:113], v[56:57], 2.0, -v[168:169]
	v_fma_f64 v[114:115], v[58:59], 2.0, -v[170:171]
	v_fma_f64 v[52:53], v[68:69], 2.0, -v[60:61]
	v_fma_f64 v[54:55], v[70:71], 2.0, -v[62:63]
	v_fma_f64 v[124:125], v[84:85], 2.0, -v[172:173]
	v_fma_f64 v[126:127], v[86:87], 2.0, -v[174:175]
	v_fma_f64 v[56:57], v[72:73], 2.0, -v[64:65]
	v_fma_f64 v[58:59], v[74:75], 2.0, -v[66:67]
	v_fma_f64 v[132:133], v[88:89], 2.0, -v[176:177]
	v_fma_f64 v[134:135], v[90:91], 2.0, -v[178:179]
	v_fma_f64 v[68:69], v[100:101], 2.0, -v[76:77]
	v_fma_f64 v[70:71], v[102:103], 2.0, -v[78:79]
	v_fma_f64 v[188:189], v[116:117], 2.0, -v[180:181]
	v_fma_f64 v[190:191], v[118:119], 2.0, -v[182:183]
	v_fma_f64 v[74:75], v[104:105], 2.0, -v[80:81]
	v_fma_f64 v[84:85], v[106:107], 2.0, -v[82:83]
	v_fma_f64 v[192:193], v[120:121], 2.0, -v[184:185]
	v_fma_f64 v[86:87], v[128:129], 2.0, -v[92:93]
	v_fma_f64 v[194:195], v[122:123], 2.0, -v[186:187]
	v_fma_f64 v[88:89], v[130:131], 2.0, -v[94:95]
	v_add_f64_e64 v[36:37], v[159:160], -v[46:47]
	v_add_f64_e32 v[38:39], v[161:162], v[44:45]
	v_add_f64_e64 v[44:45], v[164:165], -v[50:51]
	v_add_f64_e32 v[46:47], v[166:167], v[48:49]
	;; [unrolled: 2-line block ×3, first 2 shown]
	v_lshl_add_u32 v140, v144, 6, 0
	v_lshl_add_u32 v141, v151, 6, 0
	v_add_f64_e64 v[0:1], v[8:9], -v[12:13]
	v_add_f64_e64 v[2:3], v[10:11], -v[14:15]
	v_add_f64_e64 v[14:15], v[18:19], -v[138:139]
	v_add_f64_e64 v[12:13], v[16:17], -v[136:137]
	v_add_f64_e64 v[32:33], v[96:97], -v[32:33]
	v_add_f64_e64 v[34:35], v[98:99], -v[34:35]
	ds_store_b128 v140, v[0:3] offset:32
	ds_store_b128 v140, v[20:23] offset:48
	v_add_f64_e64 v[40:41], v[108:109], -v[40:41]
	v_add_f64_e64 v[42:43], v[110:111], -v[42:43]
	;; [unrolled: 1-line block ×7, first 2 shown]
	v_add_f64_e32 v[54:55], v[170:171], v[60:61]
	v_add_f64_e64 v[60:61], v[172:173], -v[66:67]
	v_add_f64_e32 v[62:63], v[174:175], v[64:65]
	v_add_f64_e64 v[64:65], v[176:177], -v[78:79]
	v_add_f64_e64 v[68:69], v[132:133], -v[68:69]
	;; [unrolled: 1-line block ×3, first 2 shown]
	v_add_f64_e32 v[66:67], v[178:179], v[76:77]
	v_add_f64_e64 v[76:77], v[188:189], -v[74:75]
	v_add_f64_e64 v[78:79], v[190:191], -v[84:85]
	v_add_f64_e32 v[74:75], v[182:183], v[80:81]
	v_add_f64_e64 v[80:81], v[192:193], -v[86:87]
	v_fma_f64 v[84:85], v[8:9], 2.0, -v[0:1]
	v_fma_f64 v[86:87], v[10:11], 2.0, -v[2:3]
	v_add_f64_e64 v[8:9], v[4:5], -v[24:25]
	v_add_f64_e64 v[10:11], v[6:7], -v[26:27]
	;; [unrolled: 1-line block ×4, first 2 shown]
	v_fma_f64 v[24:25], v[28:29], 2.0, -v[20:21]
	v_fma_f64 v[26:27], v[30:31], 2.0, -v[22:23]
	;; [unrolled: 1-line block ×9, first 2 shown]
	ds_store_b128 v140, v[84:87]
	ds_store_b128 v140, v[24:27] offset:16
	v_fma_f64 v[96:97], v[108:109], 2.0, -v[40:41]
	v_fma_f64 v[98:99], v[110:111], 2.0, -v[42:43]
	;; [unrolled: 1-line block ×14, first 2 shown]
	v_add_f64_e64 v[0:1], v[8:9], -v[14:15]
	v_add_f64_e32 v[2:3], v[10:11], v[12:13]
	v_fma_f64 v[124:125], v[176:177], 2.0, -v[64:65]
	v_fma_f64 v[126:127], v[178:179], 2.0, -v[66:67]
	v_fma_f64 v[132:133], v[180:181], 2.0, -v[72:73]
	v_fma_f64 v[134:135], v[182:183], 2.0, -v[74:75]
	v_fma_f64 v[20:21], v[192:193], 2.0, -v[80:81]
	v_fma_f64 v[22:23], v[194:195], 2.0, -v[82:83]
	v_fma_f64 v[136:137], v[184:185], 2.0, -v[88:89]
	v_lshl_add_u32 v24, v158, 6, 0
	ds_store_b128 v141, v[32:35] offset:32
	ds_store_b128 v141, v[36:39] offset:48
	ds_store_b128 v141, v[28:31]
	ds_store_b128 v141, v[92:95] offset:16
	v_lshl_add_u32 v25, v157, 6, 0
	ds_store_b128 v24, v[40:43] offset:32
	ds_store_b128 v24, v[44:47] offset:48
	ds_store_b128 v24, v[96:99]
	ds_store_b128 v24, v[100:103] offset:16
	;; [unrolled: 5-line block ×3, first 2 shown]
	ds_store_b128 v24, v[112:115]
	ds_store_b128 v24, v[116:119] offset:16
	ds_store_b128 v24, v[56:59] offset:32
	;; [unrolled: 1-line block ×3, first 2 shown]
	v_lshl_add_u32 v24, v154, 6, 0
	v_lshl_add_u32 v25, v153, 6, 0
	ds_store_b128 v145, v[120:123]
	ds_store_b128 v145, v[124:127] offset:16
	ds_store_b128 v145, v[68:71] offset:32
	ds_store_b128 v145, v[64:67] offset:48
	ds_store_b128 v24, v[128:131]
	ds_store_b128 v24, v[132:135] offset:16
	ds_store_b128 v24, v[76:79] offset:32
	ds_store_b128 v24, v[72:75] offset:48
	;; [unrolled: 4-line block ×3, first 2 shown]
	v_cmpx_gt_u32_e32 42, v144
	s_cbranch_execz .LBB0_15
; %bb.14:
	v_fma_f64 v[20:21], v[6:7], 2.0, -v[10:11]
	v_fma_f64 v[6:7], v[18:19], 2.0, -v[14:15]
	;; [unrolled: 1-line block ×6, first 2 shown]
	v_lshl_add_u32 v16, v150, 6, 0
	v_add_f64_e64 v[6:7], v[20:21], -v[6:7]
	v_add_f64_e64 v[4:5], v[18:19], -v[4:5]
	s_delay_alu instid0(VALU_DEP_2) | instskip(NEXT) | instid1(VALU_DEP_2)
	v_fma_f64 v[14:15], v[20:21], 2.0, -v[6:7]
	v_fma_f64 v[12:13], v[18:19], 2.0, -v[4:5]
	ds_store_b128 v16, v[12:15]
	ds_store_b128 v16, v[8:11] offset:16
	ds_store_b128 v16, v[4:7] offset:32
	;; [unrolled: 1-line block ×3, first 2 shown]
.LBB0_15:
	s_wait_alu 0xfffe
	s_or_b32 exec_lo, exec_lo, s1
	v_and_b32_e32 v152, 3, v144
	global_wb scope:SCOPE_SE
	s_wait_dscnt 0x0
	s_barrier_signal -1
	s_barrier_wait -1
	global_inv scope:SCOPE_SE
	v_mul_u32_u24_e32 v4, 6, v152
	v_mad_i32_i24 v159, 0xffffffd0, v155, v145
	s_mov_b32 s10, 0x429ad128
	s_mov_b32 s20, 0x37e14327
	;; [unrolled: 1-line block ×3, first 2 shown]
	v_lshlrev_b32_e32 v4, 4, v4
	ds_load_b128 v[5:8], v159
	s_mov_b32 s21, 0x3fe948f6
	s_mov_b32 s0, 0x36b3c0b5
	;; [unrolled: 1-line block ×3, first 2 shown]
	s_clause 0x1
	global_load_b128 v[12:15], v4, s[8:9]
	global_load_b128 v[16:19], v4, s[8:9] offset:16
	ds_load_b128 v[20:23], v163 offset:5376
	ds_load_b128 v[164:167], v163
	s_mov_b32 s14, 0x5476071b
	s_mov_b32 s18, 0xb247c609
	;; [unrolled: 1-line block ×14, first 2 shown]
	s_wait_loadcnt_dscnt 0x102
	v_mul_f64_e32 v[9:10], v[7:8], v[14:15]
	s_delay_alu instid0(VALU_DEP_1) | instskip(SKIP_1) | instid1(VALU_DEP_1)
	v_fma_f64 v[10:11], v[5:6], v[12:13], -v[9:10]
	v_mul_f64_e32 v[5:6], v[5:6], v[14:15]
	v_fma_f64 v[8:9], v[7:8], v[12:13], v[5:6]
	s_wait_dscnt 0x1
	v_mul_f64_e32 v[5:6], v[22:23], v[14:15]
	s_delay_alu instid0(VALU_DEP_1) | instskip(SKIP_1) | instid1(VALU_DEP_1)
	v_fma_f64 v[98:99], v[20:21], v[12:13], -v[5:6]
	v_mul_f64_e32 v[5:6], v[20:21], v[14:15]
	v_fma_f64 v[96:97], v[22:23], v[12:13], v[5:6]
	ds_load_b128 v[20:23], v163 offset:6272
	ds_load_b128 v[24:27], v163 offset:7168
	s_wait_dscnt 0x1
	v_mul_f64_e32 v[5:6], v[22:23], v[14:15]
	s_delay_alu instid0(VALU_DEP_1) | instskip(SKIP_1) | instid1(VALU_DEP_1)
	v_fma_f64 v[74:75], v[20:21], v[12:13], -v[5:6]
	v_mul_f64_e32 v[5:6], v[20:21], v[14:15]
	v_fma_f64 v[72:73], v[22:23], v[12:13], v[5:6]
	s_wait_dscnt 0x0
	v_mul_f64_e32 v[5:6], v[26:27], v[14:15]
	s_delay_alu instid0(VALU_DEP_1) | instskip(SKIP_1) | instid1(VALU_DEP_1)
	v_fma_f64 v[50:51], v[24:25], v[12:13], -v[5:6]
	v_mul_f64_e32 v[5:6], v[24:25], v[14:15]
	v_fma_f64 v[48:49], v[26:27], v[12:13], v[5:6]
	ds_load_b128 v[20:23], v163 offset:8064
	ds_load_b128 v[24:27], v163 offset:8960
	s_wait_dscnt 0x1
	v_mul_f64_e32 v[5:6], v[22:23], v[14:15]
	s_delay_alu instid0(VALU_DEP_1) | instskip(SKIP_1) | instid1(VALU_DEP_1)
	v_fma_f64 v[34:35], v[20:21], v[12:13], -v[5:6]
	v_mul_f64_e32 v[5:6], v[20:21], v[14:15]
	v_fma_f64 v[32:33], v[22:23], v[12:13], v[5:6]
	s_wait_loadcnt_dscnt 0x0
	v_mul_f64_e32 v[5:6], v[26:27], v[18:19]
	s_delay_alu instid0(VALU_DEP_1) | instskip(SKIP_1) | instid1(VALU_DEP_1)
	v_fma_f64 v[14:15], v[24:25], v[16:17], -v[5:6]
	v_mul_f64_e32 v[5:6], v[24:25], v[18:19]
	v_fma_f64 v[12:13], v[26:27], v[16:17], v[5:6]
	ds_load_b128 v[20:23], v163 offset:9856
	ds_load_b128 v[24:27], v163 offset:10752
	s_wait_dscnt 0x1
	v_mul_f64_e32 v[5:6], v[22:23], v[18:19]
	s_delay_alu instid0(VALU_DEP_1) | instskip(SKIP_1) | instid1(VALU_DEP_1)
	v_fma_f64 v[106:107], v[20:21], v[16:17], -v[5:6]
	v_mul_f64_e32 v[5:6], v[20:21], v[18:19]
	v_fma_f64 v[104:105], v[22:23], v[16:17], v[5:6]
	s_wait_dscnt 0x0
	v_mul_f64_e32 v[5:6], v[26:27], v[18:19]
	s_delay_alu instid0(VALU_DEP_1) | instskip(SKIP_1) | instid1(VALU_DEP_1)
	v_fma_f64 v[82:83], v[24:25], v[16:17], -v[5:6]
	v_mul_f64_e32 v[5:6], v[24:25], v[18:19]
	v_fma_f64 v[80:81], v[26:27], v[16:17], v[5:6]
	ds_load_b128 v[20:23], v163 offset:11648
	ds_load_b128 v[24:27], v163 offset:12544
	s_wait_dscnt 0x1
	v_mul_f64_e32 v[5:6], v[22:23], v[18:19]
	s_delay_alu instid0(VALU_DEP_1) | instskip(SKIP_1) | instid1(VALU_DEP_1)
	v_fma_f64 v[58:59], v[20:21], v[16:17], -v[5:6]
	v_mul_f64_e32 v[5:6], v[20:21], v[18:19]
	v_fma_f64 v[56:57], v[22:23], v[16:17], v[5:6]
	global_load_b128 v[20:23], v4, s[8:9] offset:32
	s_wait_dscnt 0x0
	v_mul_f64_e32 v[5:6], v[26:27], v[18:19]
	s_delay_alu instid0(VALU_DEP_1) | instskip(SKIP_1) | instid1(VALU_DEP_1)
	v_fma_f64 v[38:39], v[24:25], v[16:17], -v[5:6]
	v_mul_f64_e32 v[5:6], v[24:25], v[18:19]
	v_fma_f64 v[36:37], v[26:27], v[16:17], v[5:6]
	ds_load_b128 v[24:27], v163 offset:13440
	ds_load_b128 v[28:31], v163 offset:14336
	global_load_b128 v[52:55], v4, s[8:9] offset:48
	s_wait_loadcnt_dscnt 0x101
	v_mul_f64_e32 v[5:6], v[26:27], v[22:23]
	s_delay_alu instid0(VALU_DEP_1) | instskip(SKIP_1) | instid1(VALU_DEP_1)
	v_fma_f64 v[18:19], v[24:25], v[20:21], -v[5:6]
	v_mul_f64_e32 v[5:6], v[24:25], v[22:23]
	v_fma_f64 v[16:17], v[26:27], v[20:21], v[5:6]
	s_wait_dscnt 0x0
	v_mul_f64_e32 v[5:6], v[30:31], v[22:23]
	s_delay_alu instid0(VALU_DEP_1) | instskip(SKIP_1) | instid1(VALU_DEP_1)
	v_fma_f64 v[114:115], v[28:29], v[20:21], -v[5:6]
	v_mul_f64_e32 v[5:6], v[28:29], v[22:23]
	v_fma_f64 v[112:113], v[30:31], v[20:21], v[5:6]
	ds_load_b128 v[24:27], v163 offset:15232
	ds_load_b128 v[28:31], v163 offset:16128
	s_wait_dscnt 0x1
	v_mul_f64_e32 v[5:6], v[26:27], v[22:23]
	s_delay_alu instid0(VALU_DEP_1) | instskip(SKIP_1) | instid1(VALU_DEP_1)
	v_fma_f64 v[90:91], v[24:25], v[20:21], -v[5:6]
	v_mul_f64_e32 v[5:6], v[24:25], v[22:23]
	v_fma_f64 v[88:89], v[26:27], v[20:21], v[5:6]
	s_wait_dscnt 0x0
	v_mul_f64_e32 v[5:6], v[30:31], v[22:23]
	s_delay_alu instid0(VALU_DEP_1) | instskip(SKIP_1) | instid1(VALU_DEP_1)
	v_fma_f64 v[66:67], v[28:29], v[20:21], -v[5:6]
	v_mul_f64_e32 v[5:6], v[28:29], v[22:23]
	v_fma_f64 v[64:65], v[30:31], v[20:21], v[5:6]
	ds_load_b128 v[24:27], v163 offset:17024
	ds_load_b128 v[28:31], v163 offset:17920
	s_wait_dscnt 0x1
	v_mul_f64_e32 v[5:6], v[26:27], v[22:23]
	s_delay_alu instid0(VALU_DEP_1) | instskip(SKIP_1) | instid1(VALU_DEP_1)
	v_fma_f64 v[42:43], v[24:25], v[20:21], -v[5:6]
	v_mul_f64_e32 v[5:6], v[24:25], v[22:23]
	v_fma_f64 v[40:41], v[26:27], v[20:21], v[5:6]
	s_wait_loadcnt_dscnt 0x0
	v_mul_f64_e32 v[5:6], v[30:31], v[54:55]
	s_delay_alu instid0(VALU_DEP_1) | instskip(SKIP_1) | instid1(VALU_DEP_1)
	v_fma_f64 v[22:23], v[28:29], v[52:53], -v[5:6]
	v_mul_f64_e32 v[5:6], v[28:29], v[54:55]
	v_fma_f64 v[20:21], v[30:31], v[52:53], v[5:6]
	ds_load_b128 v[24:27], v163 offset:18816
	ds_load_b128 v[28:31], v163 offset:19712
	s_wait_dscnt 0x1
	v_mul_f64_e32 v[5:6], v[26:27], v[54:55]
	s_delay_alu instid0(VALU_DEP_1) | instskip(SKIP_1) | instid1(VALU_DEP_1)
	v_fma_f64 v[118:119], v[24:25], v[52:53], -v[5:6]
	v_mul_f64_e32 v[5:6], v[24:25], v[54:55]
	v_fma_f64 v[116:117], v[26:27], v[52:53], v[5:6]
	s_wait_dscnt 0x0
	v_mul_f64_e32 v[5:6], v[30:31], v[54:55]
	s_delay_alu instid0(VALU_DEP_1) | instskip(SKIP_1) | instid1(VALU_DEP_1)
	v_fma_f64 v[94:95], v[28:29], v[52:53], -v[5:6]
	v_mul_f64_e32 v[5:6], v[28:29], v[54:55]
	v_fma_f64 v[92:93], v[30:31], v[52:53], v[5:6]
	ds_load_b128 v[24:27], v163 offset:20608
	ds_load_b128 v[28:31], v163 offset:21504
	s_wait_dscnt 0x1
	v_mul_f64_e32 v[5:6], v[26:27], v[54:55]
	s_delay_alu instid0(VALU_DEP_1) | instskip(SKIP_1) | instid1(VALU_DEP_1)
	v_fma_f64 v[70:71], v[24:25], v[52:53], -v[5:6]
	v_mul_f64_e32 v[5:6], v[24:25], v[54:55]
	v_fma_f64 v[68:69], v[26:27], v[52:53], v[5:6]
	s_wait_dscnt 0x0
	v_mul_f64_e32 v[5:6], v[30:31], v[54:55]
	s_delay_alu instid0(VALU_DEP_1) | instskip(SKIP_1) | instid1(VALU_DEP_1)
	v_fma_f64 v[46:47], v[28:29], v[52:53], -v[5:6]
	v_mul_f64_e32 v[5:6], v[28:29], v[54:55]
	v_fma_f64 v[44:45], v[30:31], v[52:53], v[5:6]
	s_clause 0x1
	global_load_b128 v[28:31], v4, s[8:9] offset:64
	global_load_b128 v[4:7], v4, s[8:9] offset:80
	ds_load_b128 v[52:55], v163 offset:22400
	ds_load_b128 v[60:63], v163 offset:23296
	s_wait_loadcnt_dscnt 0x101
	v_mul_f64_e32 v[24:25], v[54:55], v[30:31]
	s_delay_alu instid0(VALU_DEP_1) | instskip(SKIP_3) | instid1(VALU_DEP_3)
	v_fma_f64 v[26:27], v[52:53], v[28:29], -v[24:25]
	v_mul_f64_e32 v[24:25], v[52:53], v[30:31]
	s_wait_dscnt 0x0
	v_mul_f64_e32 v[52:53], v[62:63], v[30:31]
	v_add_f64_e32 v[140:141], v[14:15], v[26:27]
	s_delay_alu instid0(VALU_DEP_3) | instskip(NEXT) | instid1(VALU_DEP_3)
	v_fma_f64 v[24:25], v[54:55], v[28:29], v[24:25]
	v_fma_f64 v[122:123], v[60:61], v[28:29], -v[52:53]
	v_mul_f64_e32 v[52:53], v[60:61], v[30:31]
	v_add_f64_e64 v[14:15], v[14:15], -v[26:27]
	s_delay_alu instid0(VALU_DEP_4) | instskip(NEXT) | instid1(VALU_DEP_3)
	v_add_f64_e32 v[142:143], v[12:13], v[24:25]
	v_fma_f64 v[120:121], v[62:63], v[28:29], v[52:53]
	ds_load_b128 v[52:55], v163 offset:24192
	ds_load_b128 v[60:63], v163 offset:25088
	s_wait_dscnt 0x1
	v_mul_f64_e32 v[76:77], v[54:55], v[30:31]
	s_delay_alu instid0(VALU_DEP_1) | instskip(SKIP_1) | instid1(VALU_DEP_1)
	v_fma_f64 v[102:103], v[52:53], v[28:29], -v[76:77]
	v_mul_f64_e32 v[52:53], v[52:53], v[30:31]
	v_fma_f64 v[100:101], v[54:55], v[28:29], v[52:53]
	s_wait_dscnt 0x0
	v_mul_f64_e32 v[52:53], v[62:63], v[30:31]
	s_delay_alu instid0(VALU_DEP_1) | instskip(SKIP_1) | instid1(VALU_DEP_1)
	v_fma_f64 v[78:79], v[60:61], v[28:29], -v[52:53]
	v_mul_f64_e32 v[52:53], v[60:61], v[30:31]
	v_fma_f64 v[76:77], v[62:63], v[28:29], v[52:53]
	ds_load_b128 v[60:63], v163 offset:25984
	ds_load_b128 v[84:87], v163 offset:26880
	s_wait_dscnt 0x1
	v_mul_f64_e32 v[52:53], v[62:63], v[30:31]
	v_mul_f64_e32 v[30:31], v[60:61], v[30:31]
	s_delay_alu instid0(VALU_DEP_2) | instskip(NEXT) | instid1(VALU_DEP_2)
	v_fma_f64 v[54:55], v[60:61], v[28:29], -v[52:53]
	v_fma_f64 v[52:53], v[62:63], v[28:29], v[30:31]
	s_wait_loadcnt_dscnt 0x0
	v_mul_f64_e32 v[28:29], v[86:87], v[6:7]
	s_delay_alu instid0(VALU_DEP_1) | instskip(SKIP_1) | instid1(VALU_DEP_1)
	v_fma_f64 v[136:137], v[84:85], v[4:5], -v[28:29]
	v_mul_f64_e32 v[28:29], v[84:85], v[6:7]
	v_fma_f64 v[132:133], v[86:87], v[4:5], v[28:29]
	ds_load_b128 v[28:31], v163 offset:27776
	ds_load_b128 v[60:63], v163 offset:28672
	s_wait_dscnt 0x1
	v_mul_f64_e32 v[84:85], v[30:31], v[6:7]
	s_delay_alu instid0(VALU_DEP_1) | instskip(SKIP_1) | instid1(VALU_DEP_1)
	v_fma_f64 v[126:127], v[28:29], v[4:5], -v[84:85]
	v_mul_f64_e32 v[28:29], v[28:29], v[6:7]
	v_fma_f64 v[124:125], v[30:31], v[4:5], v[28:29]
	s_wait_dscnt 0x0
	v_mul_f64_e32 v[28:29], v[62:63], v[6:7]
	s_delay_alu instid0(VALU_DEP_1) | instskip(SKIP_1) | instid1(VALU_DEP_1)
	v_fma_f64 v[110:111], v[60:61], v[4:5], -v[28:29]
	v_mul_f64_e32 v[28:29], v[60:61], v[6:7]
	v_fma_f64 v[108:109], v[62:63], v[4:5], v[28:29]
	ds_load_b128 v[28:31], v163 offset:29568
	ds_load_b128 v[128:131], v163 offset:30464
	s_wait_dscnt 0x1
	v_mul_f64_e32 v[60:61], v[30:31], v[6:7]
	s_delay_alu instid0(VALU_DEP_1) | instskip(SKIP_1) | instid1(VALU_DEP_1)
	v_fma_f64 v[86:87], v[28:29], v[4:5], -v[60:61]
	v_mul_f64_e32 v[28:29], v[28:29], v[6:7]
	v_fma_f64 v[84:85], v[30:31], v[4:5], v[28:29]
	s_wait_dscnt 0x0
	v_mul_f64_e32 v[28:29], v[130:131], v[6:7]
	v_mul_f64_e32 v[6:7], v[128:129], v[6:7]
	v_add_f64_e32 v[30:31], v[18:19], v[22:23]
	v_add_f64_e64 v[18:19], v[22:23], -v[18:19]
	v_add_f64_e64 v[22:23], v[10:11], -v[136:137]
	v_fma_f64 v[62:63], v[128:129], v[4:5], -v[28:29]
	v_add_f64_e32 v[28:29], v[10:11], v[136:137]
	v_fma_f64 v[60:61], v[130:131], v[4:5], v[6:7]
	v_add_f64_e32 v[128:129], v[8:9], v[132:133]
	v_add_f64_e32 v[130:131], v[16:17], v[20:21]
	v_add_f64_e64 v[10:11], v[12:13], -v[24:25]
	v_add_f64_e64 v[16:17], v[20:21], -v[16:17]
	;; [unrolled: 1-line block ×4, first 2 shown]
	v_add_f64_e32 v[8:9], v[18:19], v[14:15]
	v_add_f64_e64 v[12:13], v[18:19], -v[14:15]
	v_add_f64_e32 v[4:5], v[140:141], v[28:29]
	v_add_f64_e64 v[24:25], v[140:141], -v[28:29]
	v_add_f64_e64 v[140:141], v[14:15], -v[22:23]
	;; [unrolled: 1-line block ×6, first 2 shown]
	v_add_f64_e32 v[14:15], v[16:17], v[10:11]
	v_mul_f64_e32 v[168:169], s[16:17], v[12:13]
	v_add_f64_e32 v[134:135], v[30:31], v[4:5]
	v_add_f64_e32 v[4:5], v[142:143], v[128:129]
	v_add_f64_e64 v[30:31], v[128:129], -v[130:131]
	v_add_f64_e64 v[142:143], v[16:17], -v[10:11]
	;; [unrolled: 1-line block ×3, first 2 shown]
	s_wait_alu 0xfffe
	v_mul_f64_e32 v[28:29], s[20:21], v[28:29]
	v_mul_f64_e32 v[18:19], s[10:11], v[160:161]
	v_mul_f64_e32 v[10:11], s[0:1], v[136:137]
	v_fma_f64 v[12:13], v[140:141], s[10:11], -v[168:169]
	v_add_f64_e32 v[138:139], v[130:131], v[4:5]
	v_add_f64_e32 v[4:5], v[164:165], v[134:135]
	v_add_f64_e64 v[130:131], v[20:21], -v[16:17]
	v_mul_f64_e32 v[16:17], s[10:11], v[140:141]
	v_mul_f64_e32 v[30:31], s[20:21], v[30:31]
	v_add_f64_e32 v[164:165], v[8:9], v[22:23]
	v_mul_f64_e32 v[8:9], s[0:1], v[26:27]
	v_mul_f64_e32 v[142:143], s[16:17], v[142:143]
	v_fma_f64 v[10:11], v[132:133], s[14:15], -v[10:11]
	v_fma_f64 v[26:27], v[26:27], s[0:1], v[28:29]
	v_add_f64_e32 v[6:7], v[166:167], v[138:139]
	v_add_f64_e32 v[166:167], v[14:15], v[20:21]
	v_fma_f64 v[134:135], v[134:135], s[12:13], v[4:5]
	v_fma_f64 v[16:17], v[128:129], s[24:25], -v[16:17]
	v_fma_f64 v[18:19], v[130:131], s[24:25], -v[18:19]
	;; [unrolled: 1-line block ×5, first 2 shown]
	v_fma_f64 v[28:29], v[136:137], s[0:1], v[30:31]
	v_fma_f64 v[14:15], v[164:165], s[4:5], v[12:13]
	v_fma_f64 v[12:13], v[160:161], s[10:11], -v[142:143]
	v_fma_f64 v[138:139], v[138:139], s[12:13], v[6:7]
	v_add_f64_e32 v[26:27], v[26:27], v[134:135]
	v_fma_f64 v[24:25], v[164:165], s[4:5], v[16:17]
	v_fma_f64 v[16:17], v[166:167], s[4:5], v[18:19]
	v_add_f64_e32 v[18:19], v[20:21], v[134:135]
	v_add_f64_e32 v[170:171], v[8:9], v[134:135]
	v_fma_f64 v[12:13], v[166:167], s[4:5], v[12:13]
	v_add_f64_e32 v[132:133], v[22:23], v[138:139]
	v_add_f64_e32 v[28:29], v[28:29], v[138:139]
	;; [unrolled: 1-line block ×4, first 2 shown]
	v_add_f64_e64 v[16:17], v[18:19], -v[16:17]
	v_add_f64_e64 v[8:9], v[170:171], -v[12:13]
	v_add_f64_e32 v[12:13], v[12:13], v[170:171]
	v_lshl_add_u32 v170, v154, 4, 0
	v_add_f64_e64 v[22:23], v[132:133], -v[24:25]
	v_add_f64_e32 v[18:19], v[24:25], v[132:133]
	v_fma_f64 v[24:25], v[128:129], s[18:19], v[168:169]
	v_fma_f64 v[128:129], v[130:131], s[18:19], v[142:143]
	v_add_f64_e32 v[10:11], v[14:15], v[172:173]
	v_add_f64_e64 v[14:15], v[172:173], -v[14:15]
	v_lshl_add_u32 v169, v153, 4, 0
	v_lshl_add_u32 v168, v150, 4, 0
	v_fma_f64 v[30:31], v[164:165], s[4:5], v[24:25]
	v_fma_f64 v[24:25], v[166:167], s[4:5], v[128:129]
	v_lshl_add_u32 v167, v151, 4, 0
	v_lshl_add_u32 v166, v158, 4, 0
	;; [unrolled: 1-line block ×4, first 2 shown]
	v_add_f64_e64 v[130:131], v[28:29], -v[30:31]
	v_add_f64_e32 v[128:129], v[24:25], v[26:27]
	v_add_f64_e64 v[24:25], v[26:27], -v[24:25]
	v_add_f64_e32 v[26:27], v[30:31], v[28:29]
	v_lshrrev_b32_e32 v28, 2, v144
	s_delay_alu instid0(VALU_DEP_1) | instskip(NEXT) | instid1(VALU_DEP_1)
	v_mul_u32_u24_e32 v28, 28, v28
	v_or_b32_e32 v28, v28, v152
	s_delay_alu instid0(VALU_DEP_1)
	v_lshl_add_u32 v160, v28, 4, 0
	ds_load_b128 v[132:135], v167
	ds_load_b128 v[136:139], v166
	;; [unrolled: 1-line block ×4, first 2 shown]
	global_wb scope:SCOPE_SE
	s_wait_dscnt 0x0
	s_barrier_signal -1
	s_barrier_wait -1
	global_inv scope:SCOPE_SE
	ds_store_b128 v160, v[4:7]
	ds_store_b128 v160, v[128:131] offset:64
	ds_store_b128 v160, v[20:23] offset:128
	;; [unrolled: 1-line block ×6, first 2 shown]
	v_add_f64_e32 v[16:17], v[98:99], v[126:127]
	v_add_f64_e32 v[8:9], v[106:107], v[122:123]
	;; [unrolled: 1-line block ×6, first 2 shown]
	v_add_f64_e64 v[24:25], v[106:107], -v[122:123]
	v_add_f64_e64 v[26:27], v[118:119], -v[114:115]
	;; [unrolled: 1-line block ×6, first 2 shown]
	v_add_f64_e32 v[4:5], v[8:9], v[16:17]
	v_add_f64_e64 v[112:113], v[8:9], -v[16:17]
	v_add_f64_e64 v[114:115], v[18:19], -v[8:9]
	;; [unrolled: 1-line block ×5, first 2 shown]
	v_add_f64_e32 v[8:9], v[26:27], v[24:25]
	v_add_f64_e32 v[120:121], v[106:107], v[104:105]
	v_add_f64_e64 v[122:123], v[106:107], -v[104:105]
	v_add_f64_e64 v[104:105], v[104:105], -v[96:97]
	v_add_f64_e32 v[10:11], v[18:19], v[4:5]
	v_add_f64_e32 v[4:5], v[12:13], v[20:21]
	v_add_f64_e64 v[12:13], v[26:27], -v[24:25]
	v_add_f64_e64 v[24:25], v[24:25], -v[98:99]
	;; [unrolled: 1-line block ×4, first 2 shown]
	v_add_f64_e32 v[124:125], v[8:9], v[98:99]
	v_mul_f64_e32 v[8:9], s[0:1], v[114:115]
	v_add_f64_e32 v[120:121], v[120:121], v[96:97]
	v_add_f64_e64 v[96:97], v[96:97], -v[106:107]
	v_mul_f64_e32 v[122:123], s[16:17], v[122:123]
	v_add_f64_e32 v[14:15], v[22:23], v[4:5]
	v_add_f64_e32 v[4:5], v[132:133], v[10:11]
	v_mul_f64_e32 v[126:127], s[16:17], v[12:13]
	v_mul_f64_e32 v[20:21], s[10:11], v[24:25]
	;; [unrolled: 1-line block ×5, first 2 shown]
	v_fma_f64 v[8:9], v[112:113], s[14:15], -v[8:9]
	v_add_f64_e32 v[6:7], v[134:135], v[14:15]
	v_fma_f64 v[128:129], v[10:11], s[12:13], v[4:5]
	v_fma_f64 v[10:11], v[24:25], s[10:11], -v[126:127]
	v_mul_f64_e32 v[24:25], s[20:21], v[16:17]
	v_fma_f64 v[16:17], v[26:27], s[24:25], -v[20:21]
	v_fma_f64 v[18:19], v[96:97], s[24:25], -v[22:23]
	;; [unrolled: 1-line block ×3, first 2 shown]
	v_fma_f64 v[26:27], v[26:27], s[18:19], v[126:127]
	v_fma_f64 v[96:97], v[96:97], s[18:19], v[122:123]
	;; [unrolled: 1-line block ×3, first 2 shown]
	v_fma_f64 v[12:13], v[116:117], s[14:15], -v[12:13]
	v_fma_f64 v[130:131], v[14:15], s[12:13], v[6:7]
	v_add_f64_e32 v[134:135], v[8:9], v[128:129]
	v_fma_f64 v[14:15], v[124:125], s[4:5], v[10:11]
	v_fma_f64 v[20:21], v[112:113], s[22:23], -v[24:25]
	v_fma_f64 v[10:11], v[104:105], s[10:11], -v[122:123]
	v_fma_f64 v[104:105], v[124:125], s[4:5], v[16:17]
	v_fma_f64 v[106:107], v[120:121], s[4:5], v[18:19]
	;; [unrolled: 1-line block ×4, first 2 shown]
	v_add_f64_e32 v[22:23], v[22:23], v[130:131]
	v_add_f64_e32 v[98:99], v[98:99], v[130:131]
	;; [unrolled: 1-line block ×4, first 2 shown]
	v_fma_f64 v[132:133], v[120:121], s[4:5], v[10:11]
	v_add_f64_e64 v[18:19], v[22:23], -v[104:105]
	v_add_f64_e32 v[22:23], v[104:105], v[22:23]
	v_fma_f64 v[104:105], v[124:125], s[4:5], v[26:27]
	v_add_f64_e32 v[16:17], v[106:107], v[20:21]
	v_add_f64_e64 v[20:21], v[20:21], -v[106:107]
	v_add_f64_e32 v[106:107], v[24:25], v[128:129]
	v_add_f64_e64 v[8:9], v[134:135], -v[132:133]
	v_add_f64_e32 v[10:11], v[14:15], v[160:161]
	v_add_f64_e32 v[12:13], v[132:133], v[134:135]
	v_add_f64_e64 v[14:15], v[160:161], -v[14:15]
	v_add_f64_e64 v[26:27], v[98:99], -v[104:105]
	v_add_f64_e32 v[98:99], v[104:105], v[98:99]
	v_lshrrev_b32_e32 v104, 2, v151
	v_add_f64_e32 v[24:25], v[96:97], v[106:107]
	v_add_f64_e64 v[96:97], v[106:107], -v[96:97]
	s_delay_alu instid0(VALU_DEP_3) | instskip(NEXT) | instid1(VALU_DEP_1)
	v_mul_lo_u32 v104, v104, 28
	v_or_b32_e32 v104, v104, v152
	s_delay_alu instid0(VALU_DEP_1)
	v_lshl_add_u32 v104, v104, 4, 0
	ds_store_b128 v104, v[4:7]
	ds_store_b128 v104, v[24:27] offset:64
	ds_store_b128 v104, v[16:19] offset:128
	;; [unrolled: 1-line block ×6, first 2 shown]
	v_add_f64_e32 v[16:17], v[74:75], v[110:111]
	v_add_f64_e32 v[8:9], v[82:83], v[102:103]
	v_add_f64_e32 v[18:19], v[90:91], v[94:95]
	v_add_f64_e32 v[20:21], v[72:73], v[108:109]
	v_add_f64_e32 v[12:13], v[80:81], v[100:101]
	v_add_f64_e32 v[22:23], v[88:89], v[92:93]
	v_add_f64_e64 v[24:25], v[82:83], -v[102:103]
	v_add_f64_e64 v[26:27], v[94:95], -v[90:91]
	;; [unrolled: 1-line block ×6, first 2 shown]
	v_add_f64_e32 v[4:5], v[8:9], v[16:17]
	v_add_f64_e64 v[88:89], v[8:9], -v[16:17]
	v_add_f64_e64 v[90:91], v[18:19], -v[8:9]
	;; [unrolled: 1-line block ×5, first 2 shown]
	v_add_f64_e32 v[8:9], v[26:27], v[24:25]
	v_add_f64_e32 v[96:97], v[82:83], v[80:81]
	v_add_f64_e64 v[98:99], v[82:83], -v[80:81]
	v_add_f64_e64 v[80:81], v[80:81], -v[72:73]
	v_add_f64_e32 v[10:11], v[18:19], v[4:5]
	v_add_f64_e32 v[4:5], v[12:13], v[20:21]
	v_add_f64_e64 v[12:13], v[26:27], -v[24:25]
	v_add_f64_e64 v[24:25], v[24:25], -v[74:75]
	;; [unrolled: 1-line block ×4, first 2 shown]
	v_add_f64_e32 v[100:101], v[8:9], v[74:75]
	v_mul_f64_e32 v[8:9], s[0:1], v[90:91]
	v_add_f64_e32 v[96:97], v[96:97], v[72:73]
	v_add_f64_e64 v[72:73], v[72:73], -v[82:83]
	v_mul_f64_e32 v[98:99], s[16:17], v[98:99]
	v_add_f64_e32 v[14:15], v[22:23], v[4:5]
	v_add_f64_e32 v[4:5], v[136:137], v[10:11]
	v_mul_f64_e32 v[102:103], s[16:17], v[12:13]
	v_mul_f64_e32 v[20:21], s[10:11], v[24:25]
	;; [unrolled: 1-line block ×5, first 2 shown]
	v_fma_f64 v[8:9], v[88:89], s[14:15], -v[8:9]
	v_add_f64_e32 v[6:7], v[138:139], v[14:15]
	v_fma_f64 v[104:105], v[10:11], s[12:13], v[4:5]
	v_fma_f64 v[10:11], v[24:25], s[10:11], -v[102:103]
	v_mul_f64_e32 v[24:25], s[20:21], v[16:17]
	v_fma_f64 v[16:17], v[26:27], s[24:25], -v[20:21]
	v_fma_f64 v[18:19], v[72:73], s[24:25], -v[22:23]
	;; [unrolled: 1-line block ×3, first 2 shown]
	v_fma_f64 v[26:27], v[26:27], s[18:19], v[102:103]
	v_fma_f64 v[72:73], v[72:73], s[18:19], v[98:99]
	v_fma_f64 v[74:75], v[94:95], s[0:1], v[74:75]
	v_fma_f64 v[12:13], v[92:93], s[14:15], -v[12:13]
	v_fma_f64 v[106:107], v[14:15], s[12:13], v[6:7]
	v_add_f64_e32 v[110:111], v[8:9], v[104:105]
	v_fma_f64 v[14:15], v[100:101], s[4:5], v[10:11]
	v_fma_f64 v[20:21], v[88:89], s[22:23], -v[24:25]
	v_fma_f64 v[10:11], v[80:81], s[10:11], -v[98:99]
	v_fma_f64 v[80:81], v[100:101], s[4:5], v[16:17]
	v_fma_f64 v[82:83], v[96:97], s[4:5], v[18:19]
	;; [unrolled: 1-line block ×4, first 2 shown]
	v_add_f64_e32 v[22:23], v[22:23], v[106:107]
	v_add_f64_e32 v[74:75], v[74:75], v[106:107]
	;; [unrolled: 1-line block ×4, first 2 shown]
	v_fma_f64 v[108:109], v[96:97], s[4:5], v[10:11]
	v_add_f64_e64 v[18:19], v[22:23], -v[80:81]
	v_add_f64_e32 v[22:23], v[80:81], v[22:23]
	v_fma_f64 v[80:81], v[100:101], s[4:5], v[26:27]
	v_add_f64_e32 v[16:17], v[82:83], v[20:21]
	v_add_f64_e64 v[20:21], v[20:21], -v[82:83]
	v_add_f64_e32 v[82:83], v[24:25], v[104:105]
	v_add_f64_e64 v[8:9], v[110:111], -v[108:109]
	v_add_f64_e32 v[10:11], v[14:15], v[112:113]
	v_add_f64_e32 v[12:13], v[108:109], v[110:111]
	v_add_f64_e64 v[14:15], v[112:113], -v[14:15]
	v_add_f64_e64 v[26:27], v[74:75], -v[80:81]
	v_add_f64_e32 v[74:75], v[80:81], v[74:75]
	v_lshrrev_b32_e32 v80, 2, v158
	v_add_f64_e32 v[24:25], v[72:73], v[82:83]
	v_add_f64_e64 v[72:73], v[82:83], -v[72:73]
	s_delay_alu instid0(VALU_DEP_3) | instskip(NEXT) | instid1(VALU_DEP_1)
	v_mul_lo_u32 v80, v80, 28
	v_or_b32_e32 v80, v80, v152
	s_delay_alu instid0(VALU_DEP_1)
	v_lshl_add_u32 v80, v80, 4, 0
	ds_store_b128 v80, v[4:7]
	ds_store_b128 v80, v[24:27] offset:64
	ds_store_b128 v80, v[16:19] offset:128
	ds_store_b128 v80, v[8:11] offset:192
	ds_store_b128 v80, v[12:15] offset:256
	ds_store_b128 v80, v[20:23] offset:320
	ds_store_b128 v80, v[72:75] offset:384
	v_add_f64_e32 v[16:17], v[50:51], v[86:87]
	v_add_f64_e32 v[8:9], v[58:59], v[78:79]
	;; [unrolled: 1-line block ×6, first 2 shown]
	v_add_f64_e64 v[24:25], v[58:59], -v[78:79]
	v_add_f64_e64 v[26:27], v[70:71], -v[66:67]
	;; [unrolled: 1-line block ×6, first 2 shown]
	v_add_f64_e32 v[4:5], v[8:9], v[16:17]
	v_add_f64_e64 v[64:65], v[8:9], -v[16:17]
	v_add_f64_e64 v[66:67], v[18:19], -v[8:9]
	;; [unrolled: 1-line block ×5, first 2 shown]
	v_add_f64_e32 v[8:9], v[26:27], v[24:25]
	v_add_f64_e32 v[72:73], v[58:59], v[56:57]
	v_add_f64_e64 v[74:75], v[58:59], -v[56:57]
	v_add_f64_e64 v[56:57], v[56:57], -v[48:49]
	v_add_f64_e32 v[10:11], v[18:19], v[4:5]
	v_add_f64_e32 v[4:5], v[12:13], v[20:21]
	v_add_f64_e64 v[12:13], v[26:27], -v[24:25]
	v_add_f64_e64 v[24:25], v[24:25], -v[50:51]
	;; [unrolled: 1-line block ×4, first 2 shown]
	v_add_f64_e32 v[76:77], v[8:9], v[50:51]
	v_mul_f64_e32 v[8:9], s[0:1], v[66:67]
	v_add_f64_e32 v[72:73], v[72:73], v[48:49]
	v_add_f64_e64 v[48:49], v[48:49], -v[58:59]
	v_mul_f64_e32 v[74:75], s[16:17], v[74:75]
	v_add_f64_e32 v[14:15], v[22:23], v[4:5]
	v_add_f64_e32 v[4:5], v[140:141], v[10:11]
	v_mul_f64_e32 v[78:79], s[16:17], v[12:13]
	v_mul_f64_e32 v[20:21], s[10:11], v[24:25]
	;; [unrolled: 1-line block ×5, first 2 shown]
	v_fma_f64 v[8:9], v[64:65], s[14:15], -v[8:9]
	v_add_f64_e32 v[6:7], v[142:143], v[14:15]
	v_fma_f64 v[80:81], v[10:11], s[12:13], v[4:5]
	v_fma_f64 v[10:11], v[24:25], s[10:11], -v[78:79]
	v_mul_f64_e32 v[24:25], s[20:21], v[16:17]
	v_fma_f64 v[16:17], v[26:27], s[24:25], -v[20:21]
	v_fma_f64 v[18:19], v[48:49], s[24:25], -v[22:23]
	;; [unrolled: 1-line block ×3, first 2 shown]
	v_fma_f64 v[26:27], v[26:27], s[18:19], v[78:79]
	v_fma_f64 v[48:49], v[48:49], s[18:19], v[74:75]
	;; [unrolled: 1-line block ×3, first 2 shown]
	v_fma_f64 v[12:13], v[68:69], s[14:15], -v[12:13]
	v_fma_f64 v[82:83], v[14:15], s[12:13], v[6:7]
	v_add_f64_e32 v[86:87], v[8:9], v[80:81]
	v_fma_f64 v[14:15], v[76:77], s[4:5], v[10:11]
	v_fma_f64 v[20:21], v[64:65], s[22:23], -v[24:25]
	v_fma_f64 v[10:11], v[56:57], s[10:11], -v[74:75]
	v_fma_f64 v[56:57], v[76:77], s[4:5], v[16:17]
	v_fma_f64 v[58:59], v[72:73], s[4:5], v[18:19]
	;; [unrolled: 1-line block ×4, first 2 shown]
	v_add_f64_e32 v[22:23], v[22:23], v[82:83]
	v_add_f64_e32 v[50:51], v[50:51], v[82:83]
	;; [unrolled: 1-line block ×4, first 2 shown]
	v_fma_f64 v[84:85], v[72:73], s[4:5], v[10:11]
	v_add_f64_e64 v[18:19], v[22:23], -v[56:57]
	v_add_f64_e32 v[22:23], v[56:57], v[22:23]
	v_fma_f64 v[56:57], v[76:77], s[4:5], v[26:27]
	v_add_f64_e32 v[16:17], v[58:59], v[20:21]
	v_add_f64_e64 v[20:21], v[20:21], -v[58:59]
	v_add_f64_e32 v[58:59], v[24:25], v[80:81]
	v_add_f64_e64 v[8:9], v[86:87], -v[84:85]
	v_add_f64_e32 v[10:11], v[14:15], v[88:89]
	v_add_f64_e32 v[12:13], v[84:85], v[86:87]
	v_add_f64_e64 v[14:15], v[88:89], -v[14:15]
	v_add_f64_e64 v[26:27], v[50:51], -v[56:57]
	v_add_f64_e32 v[50:51], v[56:57], v[50:51]
	v_lshrrev_b32_e32 v56, 2, v157
	v_add_f64_e32 v[24:25], v[48:49], v[58:59]
	v_add_f64_e64 v[48:49], v[58:59], -v[48:49]
	s_delay_alu instid0(VALU_DEP_3) | instskip(NEXT) | instid1(VALU_DEP_1)
	v_mul_lo_u32 v56, v56, 28
	v_or_b32_e32 v56, v56, v152
	s_delay_alu instid0(VALU_DEP_1)
	v_lshl_add_u32 v56, v56, 4, 0
	ds_store_b128 v56, v[4:7]
	ds_store_b128 v56, v[24:27] offset:64
	ds_store_b128 v56, v[16:19] offset:128
	ds_store_b128 v56, v[8:11] offset:192
	ds_store_b128 v56, v[12:15] offset:256
	ds_store_b128 v56, v[20:23] offset:320
	ds_store_b128 v56, v[48:51] offset:384
	v_add_f64_e32 v[4:5], v[34:35], v[62:63]
	v_add_f64_e32 v[6:7], v[38:39], v[54:55]
	;; [unrolled: 1-line block ×6, first 2 shown]
	v_add_f64_e64 v[18:19], v[38:39], -v[54:55]
	v_add_f64_e64 v[26:27], v[46:47], -v[42:43]
	;; [unrolled: 1-line block ×3, first 2 shown]
	v_add_f64_e32 v[8:9], v[6:7], v[4:5]
	v_add_f64_e64 v[38:39], v[14:15], -v[22:23]
	s_delay_alu instid0(VALU_DEP_4) | instskip(NEXT) | instid1(VALU_DEP_3)
	v_add_f64_e64 v[42:43], v[26:27], -v[18:19]
	v_add_f64_e32 v[12:13], v[20:21], v[8:9]
	v_add_f64_e32 v[8:9], v[14:15], v[22:23]
	s_delay_alu instid0(VALU_DEP_3) | instskip(NEXT) | instid1(VALU_DEP_2)
	v_mul_f64_e32 v[42:43], s[16:17], v[42:43]
	v_add_f64_e32 v[16:17], v[24:25], v[8:9]
	s_delay_alu instid0(VALU_DEP_4)
	v_add_f64_e32 v[8:9], v[28:29], v[12:13]
	v_add_f64_e64 v[28:29], v[34:35], -v[62:63]
	v_add_f64_e64 v[34:35], v[44:45], -v[40:41]
	v_add_f64_e64 v[40:41], v[24:25], -v[14:15]
	v_add_f64_e32 v[14:15], v[26:27], v[18:19]
	v_add_f64_e32 v[10:11], v[30:31], v[16:17]
	v_add_f64_e64 v[30:31], v[36:37], -v[52:53]
	v_add_f64_e64 v[44:45], v[18:19], -v[28:29]
	;; [unrolled: 1-line block ×4, first 2 shown]
	v_add_f64_e32 v[48:49], v[14:15], v[28:29]
	v_fma_f64 v[52:53], v[12:13], s[12:13], v[8:9]
	v_add_f64_e64 v[4:5], v[4:5], -v[20:21]
	v_add_f64_e64 v[20:21], v[22:23], -v[24:25]
	;; [unrolled: 1-line block ×3, first 2 shown]
	v_fma_f64 v[54:55], v[16:17], s[12:13], v[10:11]
	v_add_f64_e64 v[46:47], v[34:35], -v[30:31]
	v_add_f64_e32 v[18:19], v[34:35], v[30:31]
	v_add_f64_e64 v[30:31], v[30:31], -v[32:33]
	v_fma_f64 v[12:13], v[44:45], s[10:11], -v[42:43]
	v_mul_f64_e32 v[22:23], s[10:11], v[44:45]
	v_mul_f64_e32 v[14:15], s[0:1], v[6:7]
	;; [unrolled: 1-line block ×4, first 2 shown]
	v_add_f64_e32 v[50:51], v[18:19], v[32:33]
	v_mul_f64_e32 v[24:25], s[10:11], v[30:31]
	v_fma_f64 v[56:57], v[48:49], s[4:5], v[12:13]
	v_add_f64_e64 v[32:33], v[32:33], -v[34:35]
	v_mul_f64_e32 v[18:19], s[0:1], v[40:41]
	v_fma_f64 v[14:15], v[36:37], s[14:15], -v[14:15]
	v_fma_f64 v[12:13], v[30:31], s[10:11], -v[46:47]
	v_mul_f64_e32 v[30:31], s[20:21], v[20:21]
	v_fma_f64 v[20:21], v[28:29], s[24:25], -v[22:23]
	v_fma_f64 v[28:29], v[28:29], s[18:19], v[42:43]
	v_fma_f64 v[22:23], v[32:33], s[24:25], -v[24:25]
	v_fma_f64 v[24:25], v[36:37], s[22:23], -v[4:5]
	v_fma_f64 v[32:33], v[32:33], s[18:19], v[46:47]
	v_fma_f64 v[4:5], v[6:7], s[0:1], v[4:5]
	v_fma_f64 v[18:19], v[38:39], s[14:15], -v[18:19]
	v_add_f64_e32 v[58:59], v[14:15], v[52:53]
	v_fma_f64 v[16:17], v[50:51], s[4:5], v[12:13]
	v_fma_f64 v[26:27], v[38:39], s[22:23], -v[30:31]
	v_fma_f64 v[34:35], v[48:49], s[4:5], v[20:21]
	v_fma_f64 v[6:7], v[40:41], s[0:1], v[30:31]
	v_fma_f64 v[36:37], v[50:51], s[4:5], v[22:23]
	v_add_f64_e32 v[24:25], v[24:25], v[52:53]
	v_fma_f64 v[32:33], v[50:51], s[4:5], v[32:33]
	v_add_f64_e32 v[4:5], v[4:5], v[52:53]
	v_add_f64_e32 v[18:19], v[18:19], v[54:55]
	v_cmp_gt_u32_e64 s0, 28, v144
	v_add_f64_e64 v[12:13], v[58:59], -v[16:17]
	v_add_f64_e32 v[26:27], v[26:27], v[54:55]
	v_add_f64_e32 v[16:17], v[16:17], v[58:59]
	;; [unrolled: 1-line block ×4, first 2 shown]
	v_add_f64_e64 v[24:25], v[24:25], -v[36:37]
	v_add_f64_e32 v[14:15], v[56:57], v[18:19]
	v_add_f64_e64 v[18:19], v[18:19], -v[56:57]
	v_add_f64_e64 v[22:23], v[26:27], -v[34:35]
	v_add_f64_e32 v[26:27], v[34:35], v[26:27]
	v_fma_f64 v[34:35], v[48:49], s[4:5], v[28:29]
	v_add_f64_e32 v[28:29], v[32:33], v[4:5]
	v_add_f64_e64 v[4:5], v[4:5], -v[32:33]
	v_lshrrev_b32_e32 v32, 2, v156
	s_delay_alu instid0(VALU_DEP_1) | instskip(NEXT) | instid1(VALU_DEP_1)
	v_mul_lo_u32 v32, v32, 28
	v_or_b32_e32 v32, v32, v152
	s_delay_alu instid0(VALU_DEP_1)
	v_lshl_add_u32 v32, v32, 4, 0
	v_add_f64_e64 v[30:31], v[6:7], -v[34:35]
	v_add_f64_e32 v[6:7], v[34:35], v[6:7]
	ds_store_b128 v32, v[8:11]
	ds_store_b128 v32, v[28:31] offset:64
	ds_store_b128 v32, v[20:23] offset:128
	;; [unrolled: 1-line block ×6, first 2 shown]
	global_wb scope:SCOPE_SE
	s_wait_dscnt 0x0
	s_barrier_signal -1
	s_barrier_wait -1
	global_inv scope:SCOPE_SE
	ds_load_b128 v[48:51], v159
	ds_load_b128 v[68:71], v167
	;; [unrolled: 1-line block ×3, first 2 shown]
	ds_load_b128 v[136:139], v163 offset:16576
	ds_load_b128 v[132:135], v163 offset:17472
	ds_load_b128 v[60:63], v165
	ds_load_b128 v[56:59], v164
	ds_load_b128 v[128:131], v163 offset:18368
	ds_load_b128 v[124:127], v163 offset:19264
	;; [unrolled: 1-line block ×4, first 2 shown]
	ds_load_b128 v[52:55], v170
	ds_load_b128 v[44:47], v169
	;; [unrolled: 1-line block ×3, first 2 shown]
	ds_load_b128 v[112:115], v163 offset:21952
	ds_load_b128 v[108:111], v163 offset:22848
	ds_load_b128 v[72:75], v163
	ds_load_b128 v[36:39], v163 offset:8064
	ds_load_b128 v[104:107], v163 offset:23744
	;; [unrolled: 1-line block ×17, first 2 shown]
	s_and_saveexec_b32 s1, s0
	s_cbranch_execz .LBB0_17
; %bb.16:
	ds_load_b128 v[4:7], v163 offset:15232
	ds_load_b128 v[0:3], v163 offset:30912
.LBB0_17:
	s_wait_alu 0xfffe
	s_or_b32 exec_lo, exec_lo, s1
	v_subrev_nc_u32_e32 v152, 28, v144
	s_delay_alu instid0(VALU_DEP_1) | instskip(SKIP_1) | instid1(VALU_DEP_1)
	v_cndmask_b32_e64 v159, v152, v144, s0
	v_lshrrev_b16 v152, 2, v151
	v_and_b32_e32 v152, 63, v152
	s_delay_alu instid0(VALU_DEP_1) | instskip(NEXT) | instid1(VALU_DEP_1)
	v_mul_lo_u16 v152, v152, 37
	v_lshrrev_b16 v152, 8, v152
	s_delay_alu instid0(VALU_DEP_1) | instskip(NEXT) | instid1(VALU_DEP_1)
	v_mul_lo_u16 v171, v152, 28
	v_sub_nc_u16 v171, v151, v171
	s_delay_alu instid0(VALU_DEP_1) | instskip(NEXT) | instid1(VALU_DEP_1)
	v_dual_mov_b32 v160, 0 :: v_dual_and_b32 v171, 0xff, v171
	v_lshlrev_b64_e32 v[161:162], 4, v[159:160]
	s_delay_alu instid0(VALU_DEP_2) | instskip(NEXT) | instid1(VALU_DEP_2)
	v_lshlrev_b32_e32 v171, 4, v171
	v_add_co_u32 v161, s1, s8, v161
	s_wait_alu 0xf1ff
	s_delay_alu instid0(VALU_DEP_3)
	v_add_co_ci_u32_e64 v162, s1, s9, v162, s1
	v_cmp_lt_u32_e64 s1, 27, v144
	s_clause 0x1
	global_load_b128 v[172:175], v[161:162], off offset:384
	global_load_b128 v[176:179], v171, s[8:9] offset:384
	s_wait_loadcnt_dscnt 0x103
	v_mul_f64_e32 v[161:162], v[142:143], v[174:175]
	s_delay_alu instid0(VALU_DEP_1) | instskip(SKIP_1) | instid1(VALU_DEP_1)
	v_fma_f64 v[161:162], v[140:141], v[172:173], -v[161:162]
	v_mul_f64_e32 v[140:141], v[140:141], v[174:175]
	v_fma_f64 v[142:143], v[142:143], v[172:173], v[140:141]
	s_wait_loadcnt 0x0
	v_mul_f64_e32 v[140:141], v[138:139], v[178:179]
	s_delay_alu instid0(VALU_DEP_1) | instskip(SKIP_1) | instid1(VALU_DEP_1)
	v_fma_f64 v[140:141], v[136:137], v[176:177], -v[140:141]
	v_mul_f64_e32 v[136:137], v[136:137], v[178:179]
	v_fma_f64 v[136:137], v[138:139], v[176:177], v[136:137]
	v_lshrrev_b16 v138, 2, v158
	v_lshrrev_b16 v139, 2, v157
	s_delay_alu instid0(VALU_DEP_2) | instskip(NEXT) | instid1(VALU_DEP_2)
	v_and_b32_e32 v138, 63, v138
	v_and_b32_e32 v139, 63, v139
	s_delay_alu instid0(VALU_DEP_2) | instskip(NEXT) | instid1(VALU_DEP_2)
	v_mul_lo_u16 v138, v138, 37
	v_mul_lo_u16 v139, v139, 37
	s_delay_alu instid0(VALU_DEP_2) | instskip(NEXT) | instid1(VALU_DEP_2)
	v_lshrrev_b16 v174, 8, v138
	v_lshrrev_b16 v172, 8, v139
	s_delay_alu instid0(VALU_DEP_2) | instskip(NEXT) | instid1(VALU_DEP_2)
	v_mul_lo_u16 v138, v174, 28
	v_mul_lo_u16 v139, v172, 28
	s_delay_alu instid0(VALU_DEP_2) | instskip(NEXT) | instid1(VALU_DEP_2)
	v_sub_nc_u16 v138, v158, v138
	v_sub_nc_u16 v139, v157, v139
	s_delay_alu instid0(VALU_DEP_2) | instskip(NEXT) | instid1(VALU_DEP_2)
	v_and_b32_e32 v138, 0xff, v138
	v_and_b32_e32 v139, 0xff, v139
	s_delay_alu instid0(VALU_DEP_2) | instskip(NEXT) | instid1(VALU_DEP_2)
	v_lshlrev_b32_e32 v175, 4, v138
	v_lshlrev_b32_e32 v173, 4, v139
	s_clause 0x1
	global_load_b128 v[176:179], v175, s[8:9] offset:384
	global_load_b128 v[180:183], v173, s[8:9] offset:384
	s_wait_loadcnt 0x1
	v_mul_f64_e32 v[138:139], v[134:135], v[178:179]
	s_delay_alu instid0(VALU_DEP_1) | instskip(SKIP_1) | instid1(VALU_DEP_1)
	v_fma_f64 v[138:139], v[132:133], v[176:177], -v[138:139]
	v_mul_f64_e32 v[132:133], v[132:133], v[178:179]
	v_fma_f64 v[134:135], v[134:135], v[176:177], v[132:133]
	s_wait_loadcnt 0x0
	v_mul_f64_e32 v[132:133], v[130:131], v[182:183]
	s_delay_alu instid0(VALU_DEP_1) | instskip(SKIP_1) | instid1(VALU_DEP_1)
	v_fma_f64 v[132:133], v[128:129], v[180:181], -v[132:133]
	v_mul_f64_e32 v[128:129], v[128:129], v[182:183]
	v_fma_f64 v[128:129], v[130:131], v[180:181], v[128:129]
	v_lshrrev_b16 v130, 2, v156
	v_lshrrev_b16 v131, 2, v155
	s_delay_alu instid0(VALU_DEP_2) | instskip(NEXT) | instid1(VALU_DEP_2)
	v_and_b32_e32 v130, 0xffff, v130
	v_and_b32_e32 v131, 0xffff, v131
	s_delay_alu instid0(VALU_DEP_2) | instskip(NEXT) | instid1(VALU_DEP_2)
	v_mul_u32_u24_e32 v130, 0x4925, v130
	v_mul_u32_u24_e32 v131, 0x4925, v131
	s_delay_alu instid0(VALU_DEP_2) | instskip(NEXT) | instid1(VALU_DEP_2)
	v_lshrrev_b32_e32 v177, 17, v130
	v_lshrrev_b32_e32 v176, 17, v131
	s_delay_alu instid0(VALU_DEP_2) | instskip(NEXT) | instid1(VALU_DEP_2)
	v_mul_lo_u16 v130, v177, 28
	v_mul_lo_u16 v131, v176, 28
	s_delay_alu instid0(VALU_DEP_2) | instskip(NEXT) | instid1(VALU_DEP_2)
	v_sub_nc_u16 v130, v156, v130
	v_sub_nc_u16 v131, v155, v131
	s_delay_alu instid0(VALU_DEP_2) | instskip(NEXT) | instid1(VALU_DEP_2)
	v_and_b32_e32 v130, 0xffff, v130
	v_and_b32_e32 v131, 0xffff, v131
	s_delay_alu instid0(VALU_DEP_2) | instskip(NEXT) | instid1(VALU_DEP_2)
	v_lshlrev_b32_e32 v179, 4, v130
	v_lshlrev_b32_e32 v178, 4, v131
	s_clause 0x1
	global_load_b128 v[180:183], v179, s[8:9] offset:384
	global_load_b128 v[184:187], v178, s[8:9] offset:384
	s_wait_loadcnt 0x1
	v_mul_f64_e32 v[130:131], v[126:127], v[182:183]
	s_delay_alu instid0(VALU_DEP_1) | instskip(SKIP_1) | instid1(VALU_DEP_1)
	v_fma_f64 v[130:131], v[124:125], v[180:181], -v[130:131]
	v_mul_f64_e32 v[124:125], v[124:125], v[182:183]
	v_fma_f64 v[126:127], v[126:127], v[180:181], v[124:125]
	s_wait_loadcnt 0x0
	v_mul_f64_e32 v[124:125], v[122:123], v[186:187]
	s_delay_alu instid0(VALU_DEP_1) | instskip(SKIP_1) | instid1(VALU_DEP_1)
	v_fma_f64 v[124:125], v[120:121], v[184:185], -v[124:125]
	v_mul_f64_e32 v[120:121], v[120:121], v[186:187]
	v_fma_f64 v[120:121], v[122:123], v[184:185], v[120:121]
	v_lshrrev_b16 v122, 2, v154
	v_lshrrev_b16 v123, 2, v153
	s_delay_alu instid0(VALU_DEP_2) | instskip(NEXT) | instid1(VALU_DEP_2)
	v_and_b32_e32 v122, 0xffff, v122
	v_and_b32_e32 v123, 0xffff, v123
	s_delay_alu instid0(VALU_DEP_2) | instskip(NEXT) | instid1(VALU_DEP_2)
	v_mul_u32_u24_e32 v122, 0x4925, v122
	v_mul_u32_u24_e32 v123, 0x4925, v123
	s_delay_alu instid0(VALU_DEP_2) | instskip(NEXT) | instid1(VALU_DEP_2)
	v_lshrrev_b32_e32 v181, 17, v122
	v_lshrrev_b32_e32 v180, 17, v123
	s_delay_alu instid0(VALU_DEP_2) | instskip(NEXT) | instid1(VALU_DEP_2)
	v_mul_lo_u16 v122, v181, 28
	v_mul_lo_u16 v123, v180, 28
	s_delay_alu instid0(VALU_DEP_2) | instskip(NEXT) | instid1(VALU_DEP_2)
	v_sub_nc_u16 v122, v154, v122
	v_sub_nc_u16 v123, v153, v123
	s_delay_alu instid0(VALU_DEP_2) | instskip(NEXT) | instid1(VALU_DEP_2)
	v_and_b32_e32 v122, 0xffff, v122
	v_and_b32_e32 v123, 0xffff, v123
	s_delay_alu instid0(VALU_DEP_2) | instskip(NEXT) | instid1(VALU_DEP_2)
	v_lshlrev_b32_e32 v183, 4, v122
	v_lshlrev_b32_e32 v182, 4, v123
	s_clause 0x1
	global_load_b128 v[184:187], v183, s[8:9] offset:384
	global_load_b128 v[188:191], v182, s[8:9] offset:384
	s_wait_loadcnt 0x1
	v_mul_f64_e32 v[122:123], v[118:119], v[186:187]
	s_delay_alu instid0(VALU_DEP_1) | instskip(SKIP_1) | instid1(VALU_DEP_1)
	v_fma_f64 v[122:123], v[116:117], v[184:185], -v[122:123]
	v_mul_f64_e32 v[116:117], v[116:117], v[186:187]
	v_fma_f64 v[116:117], v[118:119], v[184:185], v[116:117]
	s_wait_loadcnt 0x0
	v_mul_f64_e32 v[118:119], v[114:115], v[190:191]
	s_delay_alu instid0(VALU_DEP_1) | instskip(SKIP_1) | instid1(VALU_DEP_1)
	v_fma_f64 v[118:119], v[112:113], v[188:189], -v[118:119]
	v_mul_f64_e32 v[112:113], v[112:113], v[190:191]
	v_fma_f64 v[112:113], v[114:115], v[188:189], v[112:113]
	v_add_nc_u16 v115, v144, 0x1f8
	s_delay_alu instid0(VALU_DEP_1) | instskip(NEXT) | instid1(VALU_DEP_1)
	v_lshrrev_b16 v114, 2, v115
	v_and_b32_e32 v114, 0xffff, v114
	s_delay_alu instid0(VALU_DEP_1) | instskip(NEXT) | instid1(VALU_DEP_1)
	v_mul_u32_u24_e32 v114, 0x4925, v114
	v_lshrrev_b32_e32 v114, 17, v114
	s_delay_alu instid0(VALU_DEP_1) | instskip(NEXT) | instid1(VALU_DEP_1)
	v_mul_lo_u16 v184, v114, 28
	v_sub_nc_u16 v115, v115, v184
	v_lshrrev_b16 v184, 2, v150
	s_delay_alu instid0(VALU_DEP_2) | instskip(NEXT) | instid1(VALU_DEP_2)
	v_and_b32_e32 v115, 0xffff, v115
	v_and_b32_e32 v184, 0xffff, v184
	s_delay_alu instid0(VALU_DEP_2) | instskip(NEXT) | instid1(VALU_DEP_2)
	v_lshlrev_b32_e32 v115, 4, v115
	v_mul_u32_u24_e32 v184, 0x4925, v184
	s_delay_alu instid0(VALU_DEP_1) | instskip(NEXT) | instid1(VALU_DEP_1)
	v_lshrrev_b32_e32 v194, 17, v184
	v_mul_lo_u16 v184, v194, 28
	s_delay_alu instid0(VALU_DEP_1) | instskip(NEXT) | instid1(VALU_DEP_1)
	v_sub_nc_u16 v184, v150, v184
	v_and_b32_e32 v184, 0xffff, v184
	s_delay_alu instid0(VALU_DEP_1)
	v_lshlrev_b32_e32 v195, 4, v184
	s_clause 0x1
	global_load_b128 v[184:187], v195, s[8:9] offset:384
	global_load_b128 v[188:191], v115, s[8:9] offset:384
	s_wait_loadcnt 0x1
	v_mul_f64_e32 v[192:193], v[110:111], v[186:187]
	s_delay_alu instid0(VALU_DEP_1) | instskip(SKIP_1) | instid1(VALU_DEP_1)
	v_fma_f64 v[192:193], v[108:109], v[184:185], -v[192:193]
	v_mul_f64_e32 v[108:109], v[108:109], v[186:187]
	v_fma_f64 v[184:185], v[110:111], v[184:185], v[108:109]
	s_wait_loadcnt 0x0
	v_mul_f64_e32 v[108:109], v[106:107], v[190:191]
	s_delay_alu instid0(VALU_DEP_1) | instskip(SKIP_1) | instid1(VALU_DEP_1)
	v_fma_f64 v[186:187], v[104:105], v[188:189], -v[108:109]
	v_mul_f64_e32 v[104:105], v[104:105], v[190:191]
	v_fma_f64 v[188:189], v[106:107], v[188:189], v[104:105]
	v_add_nc_u16 v104, v144, 0x230
	s_delay_alu instid0(VALU_DEP_1) | instskip(NEXT) | instid1(VALU_DEP_1)
	v_lshrrev_b16 v105, 2, v104
	v_and_b32_e32 v105, 0xffff, v105
	s_delay_alu instid0(VALU_DEP_1) | instskip(NEXT) | instid1(VALU_DEP_1)
	v_mul_u32_u24_e32 v105, 0x4925, v105
	v_lshrrev_b32_e32 v196, 17, v105
	s_delay_alu instid0(VALU_DEP_1) | instskip(NEXT) | instid1(VALU_DEP_1)
	v_mul_lo_u16 v105, v196, 28
	v_sub_nc_u16 v104, v104, v105
	v_add_nc_u16 v105, v144, 0x268
	s_delay_alu instid0(VALU_DEP_2) | instskip(NEXT) | instid1(VALU_DEP_2)
	v_and_b32_e32 v104, 0xffff, v104
	v_lshrrev_b16 v106, 2, v105
	s_delay_alu instid0(VALU_DEP_2) | instskip(NEXT) | instid1(VALU_DEP_2)
	v_lshlrev_b32_e32 v198, 4, v104
	v_and_b32_e32 v106, 0xffff, v106
	s_delay_alu instid0(VALU_DEP_1) | instskip(NEXT) | instid1(VALU_DEP_1)
	v_mul_u32_u24_e32 v106, 0x4925, v106
	v_lshrrev_b32_e32 v197, 17, v106
	s_delay_alu instid0(VALU_DEP_1) | instskip(NEXT) | instid1(VALU_DEP_1)
	v_mul_lo_u16 v106, v197, 28
	v_sub_nc_u16 v105, v105, v106
	s_delay_alu instid0(VALU_DEP_1) | instskip(NEXT) | instid1(VALU_DEP_1)
	v_and_b32_e32 v105, 0xffff, v105
	v_lshlrev_b32_e32 v199, 4, v105
	s_clause 0x1
	global_load_b128 v[104:107], v198, s[8:9] offset:384
	global_load_b128 v[108:111], v199, s[8:9] offset:384
	s_wait_loadcnt 0x1
	v_mul_f64_e32 v[190:191], v[102:103], v[106:107]
	s_delay_alu instid0(VALU_DEP_1) | instskip(SKIP_1) | instid1(VALU_DEP_1)
	v_fma_f64 v[190:191], v[100:101], v[104:105], -v[190:191]
	v_mul_f64_e32 v[100:101], v[100:101], v[106:107]
	v_fma_f64 v[104:105], v[102:103], v[104:105], v[100:101]
	s_wait_loadcnt 0x0
	v_mul_f64_e32 v[100:101], v[98:99], v[110:111]
	s_delay_alu instid0(VALU_DEP_1) | instskip(SKIP_1) | instid1(VALU_DEP_1)
	v_fma_f64 v[106:107], v[96:97], v[108:109], -v[100:101]
	v_mul_f64_e32 v[96:97], v[96:97], v[110:111]
	v_fma_f64 v[108:109], v[98:99], v[108:109], v[96:97]
	v_add_nc_u16 v96, v144, 0x2a0
	s_delay_alu instid0(VALU_DEP_1) | instskip(NEXT) | instid1(VALU_DEP_1)
	v_lshrrev_b16 v97, 2, v96
	v_and_b32_e32 v97, 0xffff, v97
	s_delay_alu instid0(VALU_DEP_1) | instskip(NEXT) | instid1(VALU_DEP_1)
	v_mul_u32_u24_e32 v97, 0x4925, v97
	v_lshrrev_b32_e32 v200, 17, v97
	s_delay_alu instid0(VALU_DEP_1) | instskip(NEXT) | instid1(VALU_DEP_1)
	v_mul_lo_u16 v97, v200, 28
	v_sub_nc_u16 v96, v96, v97
	v_add_nc_u16 v97, v144, 0x2d8
	s_delay_alu instid0(VALU_DEP_2) | instskip(NEXT) | instid1(VALU_DEP_2)
	v_and_b32_e32 v96, 0xffff, v96
	v_lshrrev_b16 v98, 2, v97
	s_delay_alu instid0(VALU_DEP_2) | instskip(NEXT) | instid1(VALU_DEP_2)
	v_lshlrev_b32_e32 v202, 4, v96
	v_and_b32_e32 v98, 0xffff, v98
	s_delay_alu instid0(VALU_DEP_1) | instskip(NEXT) | instid1(VALU_DEP_1)
	v_mul_u32_u24_e32 v98, 0x4925, v98
	v_lshrrev_b32_e32 v201, 17, v98
	s_delay_alu instid0(VALU_DEP_1) | instskip(NEXT) | instid1(VALU_DEP_1)
	v_mul_lo_u16 v98, v201, 28
	v_sub_nc_u16 v97, v97, v98
	s_delay_alu instid0(VALU_DEP_1) | instskip(NEXT) | instid1(VALU_DEP_1)
	v_and_b32_e32 v97, 0xffff, v97
	;; [unrolled: 41-line block ×3, first 2 shown]
	v_lshlrev_b32_e32 v207, 4, v89
	s_clause 0x1
	global_load_b128 v[88:91], v206, s[8:9] offset:384
	global_load_b128 v[92:95], v207, s[8:9] offset:384
	s_wait_loadcnt 0x1
	v_mul_f64_e32 v[102:103], v[82:83], v[90:91]
	s_delay_alu instid0(VALU_DEP_1) | instskip(SKIP_1) | instid1(VALU_DEP_1)
	v_fma_f64 v[102:103], v[80:81], v[88:89], -v[102:103]
	v_mul_f64_e32 v[80:81], v[80:81], v[90:91]
	v_fma_f64 v[88:89], v[82:83], v[88:89], v[80:81]
	s_wait_loadcnt_dscnt 0x1
	v_mul_f64_e32 v[80:81], v[86:87], v[94:95]
	s_delay_alu instid0(VALU_DEP_1) | instskip(SKIP_1) | instid1(VALU_DEP_1)
	v_fma_f64 v[90:91], v[84:85], v[92:93], -v[80:81]
	v_mul_f64_e32 v[80:81], v[84:85], v[94:95]
	v_fma_f64 v[84:85], v[86:87], v[92:93], v[80:81]
	v_or_b32_e32 v80, 0x380, v144
	s_delay_alu instid0(VALU_DEP_1) | instskip(NEXT) | instid1(VALU_DEP_1)
	v_lshrrev_b16 v81, 2, v80
	v_and_b32_e32 v81, 0xffff, v81
	s_delay_alu instid0(VALU_DEP_1) | instskip(NEXT) | instid1(VALU_DEP_1)
	v_mul_u32_u24_e32 v81, 0x4925, v81
	v_lshrrev_b32_e32 v92, 17, v81
	s_delay_alu instid0(VALU_DEP_1) | instskip(NEXT) | instid1(VALU_DEP_1)
	v_mul_lo_u16 v81, v92, 28
	v_sub_nc_u16 v80, v80, v81
	s_delay_alu instid0(VALU_DEP_1) | instskip(NEXT) | instid1(VALU_DEP_1)
	v_and_b32_e32 v80, 0xffff, v80
	v_lshlrev_b32_e32 v93, 4, v80
	global_load_b128 v[80:83], v93, s[8:9] offset:384
	global_wb scope:SCOPE_SE
	s_wait_loadcnt_dscnt 0x0
	s_barrier_signal -1
	s_barrier_wait -1
	global_inv scope:SCOPE_SE
	v_mul_f64_e32 v[86:87], v[78:79], v[82:83]
	s_delay_alu instid0(VALU_DEP_1)
	v_fma_f64 v[86:87], v[76:77], v[80:81], -v[86:87]
	v_mul_f64_e32 v[76:77], v[76:77], v[82:83]
	s_wait_alu 0xf1ff
	v_cndmask_b32_e64 v82, 0, 0x380, s1
	v_lshlrev_b32_e32 v83, 4, v159
	v_lshlrev_b32_e32 v159, 2, v154
	s_delay_alu instid0(VALU_DEP_2) | instskip(SKIP_3) | instid1(VALU_DEP_2)
	v_add3_u32 v82, 0, v82, v83
	v_fma_f64 v[80:81], v[78:79], v[80:81], v[76:77]
	v_add_f64_e64 v[76:77], v[72:73], -v[161:162]
	v_add_f64_e64 v[78:79], v[74:75], -v[142:143]
	v_fma_f64 v[72:73], v[72:73], 2.0, -v[76:77]
	s_delay_alu instid0(VALU_DEP_2)
	v_fma_f64 v[74:75], v[74:75], 2.0, -v[78:79]
	ds_store_b128 v82, v[76:79] offset:448
	ds_store_b128 v82, v[72:75]
	v_add_f64_e64 v[72:73], v[68:69], -v[140:141]
	v_add_f64_e64 v[74:75], v[70:71], -v[136:137]
	v_and_b32_e32 v76, 0xffff, v152
	s_delay_alu instid0(VALU_DEP_1) | instskip(NEXT) | instid1(VALU_DEP_1)
	v_mul_u32_u24_e32 v76, 0x380, v76
	v_add3_u32 v76, 0, v76, v171
	v_fma_f64 v[68:69], v[68:69], 2.0, -v[72:73]
	v_fma_f64 v[70:71], v[70:71], 2.0, -v[74:75]
	ds_store_b128 v76, v[72:75] offset:448
	ds_store_b128 v76, v[68:71]
	v_add_f64_e64 v[68:69], v[64:65], -v[138:139]
	v_add_f64_e64 v[70:71], v[66:67], -v[134:135]
	v_and_b32_e32 v72, 0xffff, v174
	s_delay_alu instid0(VALU_DEP_1) | instskip(NEXT) | instid1(VALU_DEP_1)
	v_mul_u32_u24_e32 v72, 0x380, v72
	v_add3_u32 v72, 0, v72, v175
	v_fma_f64 v[64:65], v[64:65], 2.0, -v[68:69]
	v_fma_f64 v[66:67], v[66:67], 2.0, -v[70:71]
	ds_store_b128 v72, v[64:67]
	ds_store_b128 v72, v[68:71] offset:448
	v_add_f64_e64 v[64:65], v[60:61], -v[132:133]
	v_add_f64_e64 v[66:67], v[62:63], -v[128:129]
	v_and_b32_e32 v68, 0xffff, v172
	s_delay_alu instid0(VALU_DEP_1) | instskip(NEXT) | instid1(VALU_DEP_1)
	v_mul_u32_u24_e32 v68, 0x380, v68
	v_add3_u32 v68, 0, v68, v173
	v_fma_f64 v[60:61], v[60:61], 2.0, -v[64:65]
	v_fma_f64 v[62:63], v[62:63], 2.0, -v[66:67]
	ds_store_b128 v68, v[60:63]
	ds_store_b128 v68, v[64:67] offset:448
	v_add_f64_e64 v[60:61], v[56:57], -v[130:131]
	v_add_f64_e64 v[62:63], v[58:59], -v[126:127]
	v_mul_u32_u24_e32 v64, 0x380, v177
	s_delay_alu instid0(VALU_DEP_1) | instskip(NEXT) | instid1(VALU_DEP_4)
	v_add3_u32 v64, 0, v64, v179
	v_fma_f64 v[56:57], v[56:57], 2.0, -v[60:61]
	s_delay_alu instid0(VALU_DEP_4)
	v_fma_f64 v[58:59], v[58:59], 2.0, -v[62:63]
	ds_store_b128 v64, v[56:59]
	ds_store_b128 v64, v[60:63] offset:448
	v_add_f64_e64 v[56:57], v[48:49], -v[124:125]
	v_add_f64_e64 v[58:59], v[50:51], -v[120:121]
	v_mul_u32_u24_e32 v60, 0x380, v176
	s_delay_alu instid0(VALU_DEP_1) | instskip(NEXT) | instid1(VALU_DEP_4)
	v_add3_u32 v60, 0, v60, v178
	v_fma_f64 v[48:49], v[48:49], 2.0, -v[56:57]
	s_delay_alu instid0(VALU_DEP_4)
	;; [unrolled: 10-line block ×6, first 2 shown]
	v_fma_f64 v[38:39], v[38:39], 2.0, -v[42:43]
	ds_store_b128 v44, v[40:43] offset:448
	ds_store_b128 v44, v[36:39]
	v_add_f64_e64 v[36:37], v[32:33], -v[190:191]
	v_add_f64_e64 v[38:39], v[34:35], -v[104:105]
	v_mul_u32_u24_e32 v40, 0x380, v196
	s_delay_alu instid0(VALU_DEP_1) | instskip(NEXT) | instid1(VALU_DEP_4)
	v_add3_u32 v40, 0, v40, v198
	v_fma_f64 v[32:33], v[32:33], 2.0, -v[36:37]
	s_delay_alu instid0(VALU_DEP_4)
	v_fma_f64 v[34:35], v[34:35], 2.0, -v[38:39]
	ds_store_b128 v40, v[32:35]
	ds_store_b128 v40, v[36:39] offset:448
	v_add_f64_e64 v[32:33], v[28:29], -v[106:107]
	v_add_f64_e64 v[34:35], v[30:31], -v[108:109]
	v_mul_u32_u24_e32 v36, 0x380, v197
	s_delay_alu instid0(VALU_DEP_1) | instskip(NEXT) | instid1(VALU_DEP_4)
	v_add3_u32 v36, 0, v36, v199
	v_fma_f64 v[28:29], v[28:29], 2.0, -v[32:33]
	s_delay_alu instid0(VALU_DEP_4)
	v_fma_f64 v[30:31], v[30:31], 2.0, -v[34:35]
	ds_store_b128 v36, v[28:31]
	ds_store_b128 v36, v[32:35] offset:448
	v_add_f64_e64 v[28:29], v[24:25], -v[110:111]
	v_add_f64_e64 v[30:31], v[26:27], -v[96:97]
	v_mul_u32_u24_e32 v32, 0x380, v200
	s_delay_alu instid0(VALU_DEP_1) | instskip(NEXT) | instid1(VALU_DEP_4)
	v_add3_u32 v32, 0, v32, v202
	v_fma_f64 v[24:25], v[24:25], 2.0, -v[28:29]
	s_delay_alu instid0(VALU_DEP_4)
	v_fma_f64 v[26:27], v[26:27], 2.0, -v[30:31]
	ds_store_b128 v32, v[24:27]
	ds_store_b128 v32, v[28:31] offset:448
	v_add_f64_e64 v[24:25], v[20:21], -v[98:99]
	v_add_f64_e64 v[26:27], v[22:23], -v[100:101]
	v_mul_u32_u24_e32 v28, 0x380, v201
	s_delay_alu instid0(VALU_DEP_1) | instskip(NEXT) | instid1(VALU_DEP_4)
	v_add3_u32 v28, 0, v28, v203
	v_fma_f64 v[20:21], v[20:21], 2.0, -v[24:25]
	s_delay_alu instid0(VALU_DEP_4)
	v_fma_f64 v[22:23], v[22:23], 2.0, -v[26:27]
	ds_store_b128 v28, v[20:23]
	ds_store_b128 v28, v[24:27] offset:448
	v_add_f64_e64 v[20:21], v[16:17], -v[102:103]
	v_add_f64_e64 v[22:23], v[18:19], -v[88:89]
	v_mul_u32_u24_e32 v24, 0x380, v204
	s_delay_alu instid0(VALU_DEP_1) | instskip(NEXT) | instid1(VALU_DEP_4)
	v_add3_u32 v24, 0, v24, v206
	v_fma_f64 v[16:17], v[16:17], 2.0, -v[20:21]
	s_delay_alu instid0(VALU_DEP_4)
	v_fma_f64 v[18:19], v[18:19], 2.0, -v[22:23]
	ds_store_b128 v24, v[16:19]
	ds_store_b128 v24, v[20:23] offset:448
	v_add_f64_e64 v[16:17], v[12:13], -v[90:91]
	v_add_f64_e64 v[18:19], v[14:15], -v[84:85]
	v_mul_u32_u24_e32 v20, 0x380, v205
	s_delay_alu instid0(VALU_DEP_1) | instskip(NEXT) | instid1(VALU_DEP_4)
	v_add3_u32 v20, 0, v20, v207
	v_fma_f64 v[12:13], v[12:13], 2.0, -v[16:17]
	s_delay_alu instid0(VALU_DEP_4)
	v_fma_f64 v[14:15], v[14:15], 2.0, -v[18:19]
	ds_store_b128 v20, v[12:15]
	ds_store_b128 v20, v[16:19] offset:448
	v_add_f64_e64 v[12:13], v[8:9], -v[86:87]
	v_add_f64_e64 v[14:15], v[10:11], -v[80:81]
	v_mul_u32_u24_e32 v16, 0x380, v92
	v_lshlrev_b32_e32 v20, 2, v151
	v_lshlrev_b32_e32 v19, 2, v158
	;; [unrolled: 1-line block ×4, first 2 shown]
	v_add3_u32 v16, 0, v16, v93
	v_fma_f64 v[8:9], v[8:9], 2.0, -v[12:13]
	v_fma_f64 v[10:11], v[10:11], 2.0, -v[14:15]
	ds_store_b128 v16, v[8:11]
	ds_store_b128 v16, v[12:15] offset:448
	v_mul_i32_i24_e32 v8, 0xffffffd0, v155
	v_lshlrev_b32_e32 v12, 2, v144
	v_lshlrev_b32_e32 v16, 2, v155
	s_and_saveexec_b32 s1, s0
	s_cbranch_execz .LBB0_19
; %bb.18:
	v_add_nc_u16 v9, v144, 0x3b8
	s_delay_alu instid0(VALU_DEP_1) | instskip(NEXT) | instid1(VALU_DEP_1)
	v_lshrrev_b16 v10, 2, v9
	v_and_b32_e32 v10, 0xffff, v10
	s_delay_alu instid0(VALU_DEP_1) | instskip(NEXT) | instid1(VALU_DEP_1)
	v_mul_u32_u24_e32 v10, 0x4925, v10
	v_lshrrev_b32_e32 v10, 17, v10
	s_delay_alu instid0(VALU_DEP_1) | instskip(NEXT) | instid1(VALU_DEP_1)
	v_mul_lo_u16 v10, v10, 28
	v_sub_nc_u16 v9, v9, v10
	s_delay_alu instid0(VALU_DEP_1) | instskip(NEXT) | instid1(VALU_DEP_1)
	v_and_b32_e32 v9, 0xffff, v9
	v_lshlrev_b32_e32 v11, 4, v9
	global_load_b128 v[21:24], v11, s[8:9] offset:384
	s_wait_loadcnt 0x0
	v_mul_f64_e32 v[9:10], v[0:1], v[23:24]
	v_mul_f64_e32 v[13:14], v[2:3], v[23:24]
	s_delay_alu instid0(VALU_DEP_2) | instskip(NEXT) | instid1(VALU_DEP_2)
	v_fma_f64 v[2:3], v[2:3], v[21:22], v[9:10]
	v_fma_f64 v[0:1], v[0:1], v[21:22], -v[13:14]
	v_add_nc_u32_e32 v9, 0, v11
	s_delay_alu instid0(VALU_DEP_3) | instskip(NEXT) | instid1(VALU_DEP_3)
	v_add_f64_e64 v[2:3], v[6:7], -v[2:3]
	v_add_f64_e64 v[0:1], v[4:5], -v[0:1]
	s_delay_alu instid0(VALU_DEP_2) | instskip(NEXT) | instid1(VALU_DEP_2)
	v_fma_f64 v[6:7], v[6:7], 2.0, -v[2:3]
	v_fma_f64 v[4:5], v[4:5], 2.0, -v[0:1]
	ds_store_b128 v9, v[4:7] offset:30464
	ds_store_b128 v9, v[0:3] offset:30912
.LBB0_19:
	s_wait_alu 0xfffe
	s_or_b32 exec_lo, exec_lo, s1
	v_mul_u32_u24_e32 v0, 6, v144
	global_wb scope:SCOPE_SE
	s_wait_dscnt 0x0
	s_barrier_signal -1
	s_barrier_wait -1
	global_inv scope:SCOPE_SE
	v_lshlrev_b32_e32 v15, 4, v0
	v_add_nc_u32_e32 v67, v145, v8
	s_mov_b32 s18, 0xe976ee23
	s_mov_b32 s19, 0xbfe11646
	;; [unrolled: 1-line block ×3, first 2 shown]
	s_clause 0x1
	global_load_b128 v[0:3], v15, s[8:9] offset:832
	global_load_b128 v[4:7], v15, s[8:9] offset:848
	ds_load_b128 v[8:11], v67
	s_mov_b32 s14, 0xaaaaaaaa
	s_mov_b32 s22, 0x37e14327
	s_mov_b32 s13, 0x3febfeb5
	s_mov_b32 s15, 0xbff2aaaa
	s_mov_b32 s23, 0x3fe948f6
	s_mov_b32 s4, 0x36b3c0b5
	s_mov_b32 s20, 0xb247c609
	s_mov_b32 s5, 0x3fac98ee
	s_mov_b32 s21, 0x3fd5d0dc
	s_mov_b32 s27, 0xbfd5d0dc
	s_wait_alu 0xfffe
	s_mov_b32 s26, s20
	s_mov_b32 s16, 0x5476071b
	;; [unrolled: 1-line block ×6, first 2 shown]
	s_wait_alu 0xfffe
	s_mov_b32 s24, s16
	s_wait_loadcnt_dscnt 0x100
	v_mul_f64_e32 v[13:14], v[10:11], v[2:3]
	s_delay_alu instid0(VALU_DEP_1) | instskip(SKIP_1) | instid1(VALU_DEP_1)
	v_fma_f64 v[21:22], v[8:9], v[0:1], -v[13:14]
	v_mul_f64_e32 v[8:9], v[8:9], v[2:3]
	v_fma_f64 v[13:14], v[10:11], v[0:1], v[8:9]
	ds_load_b128 v[8:11], v163 offset:5376
	ds_load_b128 v[70:73], v163
	s_wait_dscnt 0x1
	v_mul_f64_e32 v[23:24], v[10:11], v[2:3]
	v_mul_f64_e32 v[2:3], v[8:9], v[2:3]
	s_delay_alu instid0(VALU_DEP_2) | instskip(NEXT) | instid1(VALU_DEP_2)
	v_fma_f64 v[61:62], v[8:9], v[0:1], -v[23:24]
	v_fma_f64 v[59:60], v[10:11], v[0:1], v[2:3]
	ds_load_b128 v[0:3], v163 offset:8960
	ds_load_b128 v[8:11], v163 offset:8064
	s_wait_loadcnt_dscnt 0x1
	v_mul_f64_e32 v[23:24], v[2:3], v[6:7]
	s_delay_alu instid0(VALU_DEP_1) | instskip(SKIP_1) | instid1(VALU_DEP_1)
	v_fma_f64 v[86:87], v[0:1], v[4:5], -v[23:24]
	v_mul_f64_e32 v[0:1], v[0:1], v[6:7]
	v_fma_f64 v[88:89], v[2:3], v[4:5], v[0:1]
	ds_load_b128 v[0:3], v163 offset:9856
	ds_load_b128 v[23:26], v163 offset:10752
	s_wait_dscnt 0x1
	v_mul_f64_e32 v[27:28], v[2:3], v[6:7]
	s_delay_alu instid0(VALU_DEP_1) | instskip(SKIP_1) | instid1(VALU_DEP_1)
	v_fma_f64 v[106:107], v[0:1], v[4:5], -v[27:28]
	v_mul_f64_e32 v[0:1], v[0:1], v[6:7]
	v_fma_f64 v[108:109], v[2:3], v[4:5], v[0:1]
	s_clause 0x1
	global_load_b128 v[0:3], v15, s[8:9] offset:864
	global_load_b128 v[4:7], v15, s[8:9] offset:880
	ds_load_b128 v[27:30], v163 offset:13440
	ds_load_b128 v[31:34], v163 offset:14336
	s_wait_loadcnt_dscnt 0x101
	v_mul_f64_e32 v[35:36], v[29:30], v[2:3]
	s_delay_alu instid0(VALU_DEP_1) | instskip(SKIP_1) | instid1(VALU_DEP_1)
	v_fma_f64 v[90:91], v[27:28], v[0:1], -v[35:36]
	v_mul_f64_e32 v[27:28], v[27:28], v[2:3]
	v_fma_f64 v[92:93], v[29:30], v[0:1], v[27:28]
	s_wait_dscnt 0x0
	v_mul_f64_e32 v[27:28], v[33:34], v[2:3]
	v_mul_f64_e32 v[2:3], v[31:32], v[2:3]
	s_delay_alu instid0(VALU_DEP_2) | instskip(NEXT) | instid1(VALU_DEP_2)
	v_fma_f64 v[110:111], v[31:32], v[0:1], -v[27:28]
	v_fma_f64 v[112:113], v[33:34], v[0:1], v[2:3]
	ds_load_b128 v[0:3], v163 offset:17920
	ds_load_b128 v[27:30], v163 offset:17024
	s_wait_loadcnt_dscnt 0x1
	v_mul_f64_e32 v[31:32], v[2:3], v[6:7]
	s_delay_alu instid0(VALU_DEP_1) | instskip(SKIP_1) | instid1(VALU_DEP_2)
	v_fma_f64 v[94:95], v[0:1], v[4:5], -v[31:32]
	v_mul_f64_e32 v[0:1], v[0:1], v[6:7]
	v_add_f64_e32 v[173:174], v[90:91], v[94:95]
	s_delay_alu instid0(VALU_DEP_2)
	v_fma_f64 v[96:97], v[2:3], v[4:5], v[0:1]
	ds_load_b128 v[0:3], v163 offset:18816
	ds_load_b128 v[31:34], v163 offset:19712
	v_add_f64_e64 v[90:91], v[94:95], -v[90:91]
	s_wait_dscnt 0x1
	v_mul_f64_e32 v[35:36], v[2:3], v[6:7]
	v_add_f64_e32 v[179:180], v[92:93], v[96:97]
	v_add_f64_e64 v[92:93], v[96:97], -v[92:93]
	s_delay_alu instid0(VALU_DEP_3) | instskip(SKIP_1) | instid1(VALU_DEP_2)
	v_fma_f64 v[114:115], v[0:1], v[4:5], -v[35:36]
	v_mul_f64_e32 v[0:1], v[0:1], v[6:7]
	v_add_f64_e32 v[187:188], v[110:111], v[114:115]
	s_delay_alu instid0(VALU_DEP_2)
	v_fma_f64 v[116:117], v[2:3], v[4:5], v[0:1]
	s_clause 0x1
	global_load_b128 v[0:3], v15, s[8:9] offset:896
	global_load_b128 v[4:7], v15, s[8:9] offset:912
	ds_load_b128 v[35:38], v163 offset:22400
	ds_load_b128 v[39:42], v163 offset:23296
	v_add_f64_e32 v[195:196], v[112:113], v[116:117]
	v_add_f64_e64 v[112:113], v[116:117], -v[112:113]
	s_wait_loadcnt_dscnt 0x101
	v_mul_f64_e32 v[43:44], v[37:38], v[2:3]
	s_delay_alu instid0(VALU_DEP_1) | instskip(SKIP_1) | instid1(VALU_DEP_1)
	v_fma_f64 v[98:99], v[35:36], v[0:1], -v[43:44]
	v_mul_f64_e32 v[35:36], v[35:36], v[2:3]
	v_fma_f64 v[100:101], v[37:38], v[0:1], v[35:36]
	s_wait_dscnt 0x0
	v_mul_f64_e32 v[35:36], v[41:42], v[2:3]
	v_mul_f64_e32 v[2:3], v[39:40], v[2:3]
	s_delay_alu instid0(VALU_DEP_3) | instskip(NEXT) | instid1(VALU_DEP_3)
	v_add_f64_e32 v[177:178], v[88:89], v[100:101]
	v_fma_f64 v[118:119], v[39:40], v[0:1], -v[35:36]
	s_delay_alu instid0(VALU_DEP_3)
	v_fma_f64 v[120:121], v[41:42], v[0:1], v[2:3]
	ds_load_b128 v[0:3], v163 offset:26880
	ds_load_b128 v[74:77], v163 offset:25984
	v_add_f64_e64 v[88:89], v[88:89], -v[100:101]
	s_wait_loadcnt_dscnt 0x1
	v_mul_f64_e32 v[35:36], v[2:3], v[6:7]
	v_add_f64_e64 v[100:101], v[179:180], -v[177:178]
	v_add_f64_e32 v[185:186], v[106:107], v[118:119]
	v_add_f64_e32 v[193:194], v[108:109], v[120:121]
	s_delay_alu instid0(VALU_DEP_4) | instskip(SKIP_1) | instid1(VALU_DEP_2)
	v_fma_f64 v[102:103], v[0:1], v[4:5], -v[35:36]
	v_mul_f64_e32 v[0:1], v[0:1], v[6:7]
	v_add_f64_e32 v[171:172], v[21:22], v[102:103]
	s_delay_alu instid0(VALU_DEP_2)
	v_fma_f64 v[104:105], v[2:3], v[4:5], v[0:1]
	ds_load_b128 v[0:3], v163 offset:27776
	ds_load_b128 v[35:38], v163 offset:28672
	v_add_f64_e64 v[21:22], v[21:22], -v[102:103]
	s_wait_dscnt 0x1
	v_mul_f64_e32 v[39:40], v[2:3], v[6:7]
	v_add_f64_e32 v[175:176], v[13:14], v[104:105]
	v_add_f64_e64 v[13:14], v[13:14], -v[104:105]
	s_delay_alu instid0(VALU_DEP_3) | instskip(SKIP_1) | instid1(VALU_DEP_4)
	v_fma_f64 v[122:123], v[0:1], v[4:5], -v[39:40]
	v_mul_f64_e32 v[0:1], v[0:1], v[6:7]
	v_add_f64_e64 v[96:97], v[177:178], -v[175:176]
	s_delay_alu instid0(VALU_DEP_4) | instskip(NEXT) | instid1(VALU_DEP_4)
	v_add_f64_e64 v[215:216], v[88:89], -v[13:14]
	v_add_f64_e32 v[183:184], v[61:62], v[122:123]
	s_delay_alu instid0(VALU_DEP_4) | instskip(SKIP_1) | instid1(VALU_DEP_1)
	v_fma_f64 v[124:125], v[2:3], v[4:5], v[0:1]
	v_lshrrev_b16 v0, 3, v158
	v_and_b32_e32 v0, 31, v0
	s_delay_alu instid0(VALU_DEP_1) | instskip(NEXT) | instid1(VALU_DEP_1)
	v_mul_lo_u16 v0, v0, 37
	v_lshrrev_b16 v0, 8, v0
	s_delay_alu instid0(VALU_DEP_1) | instskip(NEXT) | instid1(VALU_DEP_1)
	v_mul_lo_u16 v0, v0, 56
	v_sub_nc_u16 v0, v158, v0
	s_delay_alu instid0(VALU_DEP_1) | instskip(NEXT) | instid1(VALU_DEP_1)
	v_and_b32_e32 v69, 0xff, v0
	v_mul_u32_u24_e32 v0, 6, v69
	v_add_f64_e64 v[116:117], v[185:186], -v[183:184]
	v_add_f64_e32 v[191:192], v[59:60], v[124:125]
	s_delay_alu instid0(VALU_DEP_3)
	v_lshlrev_b32_e32 v15, 4, v0
	s_clause 0x1
	global_load_b128 v[0:3], v15, s[8:9] offset:832
	global_load_b128 v[4:7], v15, s[8:9] offset:848
	ds_load_b128 v[39:42], v163 offset:6272
	ds_load_b128 v[43:46], v163 offset:7168
	s_wait_loadcnt_dscnt 0x101
	v_mul_f64_e32 v[47:48], v[41:42], v[2:3]
	v_mul_f64_e32 v[2:3], v[39:40], v[2:3]
	s_delay_alu instid0(VALU_DEP_2) | instskip(NEXT) | instid1(VALU_DEP_2)
	v_fma_f64 v[65:66], v[39:40], v[0:1], -v[47:48]
	v_fma_f64 v[63:64], v[41:42], v[0:1], v[2:3]
	s_wait_loadcnt 0x0
	v_mul_f64_e32 v[0:1], v[25:26], v[6:7]
	s_delay_alu instid0(VALU_DEP_1) | instskip(SKIP_1) | instid1(VALU_DEP_1)
	v_fma_f64 v[126:127], v[23:24], v[4:5], -v[0:1]
	v_mul_f64_e32 v[0:1], v[23:24], v[6:7]
	v_fma_f64 v[128:129], v[25:26], v[4:5], v[0:1]
	s_clause 0x1
	global_load_b128 v[0:3], v15, s[8:9] offset:864
	global_load_b128 v[4:7], v15, s[8:9] offset:880
	ds_load_b128 v[23:26], v163 offset:15232
	ds_load_b128 v[47:50], v163 offset:16128
	s_wait_loadcnt_dscnt 0x101
	v_mul_f64_e32 v[39:40], v[25:26], v[2:3]
	v_mul_f64_e32 v[2:3], v[23:24], v[2:3]
	s_delay_alu instid0(VALU_DEP_2) | instskip(NEXT) | instid1(VALU_DEP_2)
	v_fma_f64 v[130:131], v[23:24], v[0:1], -v[39:40]
	v_fma_f64 v[132:133], v[25:26], v[0:1], v[2:3]
	s_wait_loadcnt 0x0
	v_mul_f64_e32 v[0:1], v[33:34], v[6:7]
	s_delay_alu instid0(VALU_DEP_1) | instskip(SKIP_1) | instid1(VALU_DEP_2)
	v_fma_f64 v[134:135], v[31:32], v[4:5], -v[0:1]
	v_mul_f64_e32 v[0:1], v[31:32], v[6:7]
	v_add_f64_e32 v[203:204], v[130:131], v[134:135]
	s_delay_alu instid0(VALU_DEP_2)
	v_fma_f64 v[136:137], v[33:34], v[4:5], v[0:1]
	s_clause 0x1
	global_load_b128 v[0:3], v15, s[8:9] offset:896
	global_load_b128 v[4:7], v15, s[8:9] offset:912
	ds_load_b128 v[23:26], v163 offset:24192
	ds_load_b128 v[31:34], v163 offset:25088
	v_add_f64_e32 v[211:212], v[132:133], v[136:137]
	v_add_f64_e64 v[132:133], v[136:137], -v[132:133]
	s_wait_loadcnt_dscnt 0x101
	v_mul_f64_e32 v[39:40], v[25:26], v[2:3]
	v_mul_f64_e32 v[2:3], v[23:24], v[2:3]
	s_delay_alu instid0(VALU_DEP_2) | instskip(NEXT) | instid1(VALU_DEP_2)
	v_fma_f64 v[138:139], v[23:24], v[0:1], -v[39:40]
	v_fma_f64 v[140:141], v[25:26], v[0:1], v[2:3]
	s_wait_loadcnt 0x0
	v_mul_f64_e32 v[0:1], v[37:38], v[6:7]
	s_delay_alu instid0(VALU_DEP_3) | instskip(NEXT) | instid1(VALU_DEP_3)
	v_add_f64_e32 v[201:202], v[126:127], v[138:139]
	v_add_f64_e32 v[209:210], v[128:129], v[140:141]
	s_delay_alu instid0(VALU_DEP_3) | instskip(SKIP_1) | instid1(VALU_DEP_2)
	v_fma_f64 v[142:143], v[35:36], v[4:5], -v[0:1]
	v_mul_f64_e32 v[0:1], v[35:36], v[6:7]
	v_add_f64_e32 v[199:200], v[65:66], v[142:143]
	s_delay_alu instid0(VALU_DEP_2) | instskip(SKIP_1) | instid1(VALU_DEP_1)
	v_fma_f64 v[161:162], v[37:38], v[4:5], v[0:1]
	v_lshrrev_b16 v0, 3, v157
	v_and_b32_e32 v0, 31, v0
	s_delay_alu instid0(VALU_DEP_1) | instskip(NEXT) | instid1(VALU_DEP_1)
	v_mul_lo_u16 v0, v0, 37
	v_lshrrev_b16 v0, 8, v0
	s_delay_alu instid0(VALU_DEP_1) | instskip(NEXT) | instid1(VALU_DEP_1)
	v_mul_lo_u16 v0, v0, 56
	v_sub_nc_u16 v0, v157, v0
	s_delay_alu instid0(VALU_DEP_1) | instskip(NEXT) | instid1(VALU_DEP_1)
	v_and_b32_e32 v68, 0xff, v0
	v_mul_u32_u24_e32 v0, 6, v68
	v_add_f64_e32 v[205:206], v[201:202], v[199:200]
	v_add_f64_e32 v[207:208], v[63:64], v[161:162]
	v_add_f64_e64 v[136:137], v[201:202], -v[199:200]
	s_delay_alu instid0(VALU_DEP_4)
	v_lshlrev_b32_e32 v15, 4, v0
	s_clause 0x1
	global_load_b128 v[0:3], v15, s[8:9] offset:832
	global_load_b128 v[4:7], v15, s[8:9] offset:848
	v_add_f64_e32 v[205:206], v[203:204], v[205:206]
	v_add_f64_e32 v[213:214], v[209:210], v[207:208]
	s_delay_alu instid0(VALU_DEP_1) | instskip(SKIP_3) | instid1(VALU_DEP_2)
	v_add_f64_e32 v[213:214], v[211:212], v[213:214]
	s_wait_loadcnt 0x1
	v_mul_f64_e32 v[23:24], v[45:46], v[2:3]
	v_mul_f64_e32 v[2:3], v[43:44], v[2:3]
	v_fma_f64 v[37:38], v[43:44], v[0:1], -v[23:24]
	s_delay_alu instid0(VALU_DEP_2) | instskip(SKIP_4) | instid1(VALU_DEP_1)
	v_fma_f64 v[35:36], v[45:46], v[0:1], v[2:3]
	ds_load_b128 v[0:3], v163 offset:11648
	ds_load_b128 v[23:26], v163 offset:12544
	s_wait_loadcnt_dscnt 0x1
	v_mul_f64_e32 v[39:40], v[2:3], v[6:7]
	v_fma_f64 v[41:42], v[0:1], v[4:5], -v[39:40]
	v_mul_f64_e32 v[0:1], v[0:1], v[6:7]
	s_delay_alu instid0(VALU_DEP_1)
	v_fma_f64 v[39:40], v[2:3], v[4:5], v[0:1]
	s_clause 0x1
	global_load_b128 v[0:3], v15, s[8:9] offset:864
	global_load_b128 v[4:7], v15, s[8:9] offset:880
	s_wait_loadcnt 0x1
	v_mul_f64_e32 v[43:44], v[49:50], v[2:3]
	v_mul_f64_e32 v[2:3], v[47:48], v[2:3]
	s_delay_alu instid0(VALU_DEP_2) | instskip(NEXT) | instid1(VALU_DEP_2)
	v_fma_f64 v[45:46], v[47:48], v[0:1], -v[43:44]
	v_fma_f64 v[43:44], v[49:50], v[0:1], v[2:3]
	ds_load_b128 v[0:3], v163 offset:20608
	ds_load_b128 v[78:81], v163 offset:21504
	s_wait_loadcnt_dscnt 0x1
	v_mul_f64_e32 v[47:48], v[2:3], v[6:7]
	s_delay_alu instid0(VALU_DEP_1) | instskip(SKIP_1) | instid1(VALU_DEP_1)
	v_fma_f64 v[49:50], v[0:1], v[4:5], -v[47:48]
	v_mul_f64_e32 v[0:1], v[0:1], v[6:7]
	v_fma_f64 v[47:48], v[2:3], v[4:5], v[0:1]
	s_clause 0x1
	global_load_b128 v[0:3], v15, s[8:9] offset:896
	global_load_b128 v[4:7], v15, s[8:9] offset:912
	s_wait_loadcnt 0x1
	v_mul_f64_e32 v[51:52], v[33:34], v[2:3]
	v_mul_f64_e32 v[2:3], v[31:32], v[2:3]
	s_delay_alu instid0(VALU_DEP_2) | instskip(NEXT) | instid1(VALU_DEP_2)
	v_fma_f64 v[53:54], v[31:32], v[0:1], -v[51:52]
	v_fma_f64 v[51:52], v[33:34], v[0:1], v[2:3]
	ds_load_b128 v[0:3], v163 offset:29568
	ds_load_b128 v[82:85], v163 offset:30464
	s_wait_loadcnt_dscnt 0x1
	v_mul_f64_e32 v[31:32], v[2:3], v[6:7]
	s_delay_alu instid0(VALU_DEP_1) | instskip(SKIP_1) | instid1(VALU_DEP_1)
	v_fma_f64 v[57:58], v[0:1], v[4:5], -v[31:32]
	v_mul_f64_e32 v[0:1], v[0:1], v[6:7]
	v_fma_f64 v[55:56], v[2:3], v[4:5], v[0:1]
	v_lshrrev_b16 v0, 3, v156
	s_delay_alu instid0(VALU_DEP_1) | instskip(NEXT) | instid1(VALU_DEP_1)
	v_and_b32_e32 v0, 0xffff, v0
	v_mul_u32_u24_e32 v0, 0x2493, v0
	s_delay_alu instid0(VALU_DEP_1) | instskip(NEXT) | instid1(VALU_DEP_1)
	v_lshrrev_b32_e32 v0, 16, v0
	v_mul_lo_u16 v0, v0, 56
	s_delay_alu instid0(VALU_DEP_1) | instskip(NEXT) | instid1(VALU_DEP_1)
	v_sub_nc_u16 v0, v156, v0
	v_and_b32_e32 v15, 0xffff, v0
	s_delay_alu instid0(VALU_DEP_1) | instskip(NEXT) | instid1(VALU_DEP_1)
	v_mul_u32_u24_e32 v0, 6, v15
	v_lshlrev_b32_e32 v145, 4, v0
	s_clause 0x1
	global_load_b128 v[4:7], v145, s[8:9] offset:832
	global_load_b128 v[31:34], v145, s[8:9] offset:848
	s_wait_loadcnt 0x1
	v_mul_f64_e32 v[0:1], v[10:11], v[6:7]
	s_delay_alu instid0(VALU_DEP_1) | instskip(SKIP_1) | instid1(VALU_DEP_1)
	v_fma_f64 v[2:3], v[8:9], v[4:5], -v[0:1]
	v_mul_f64_e32 v[0:1], v[8:9], v[6:7]
	v_fma_f64 v[0:1], v[10:11], v[4:5], v[0:1]
	s_wait_loadcnt 0x0
	v_mul_f64_e32 v[4:5], v[25:26], v[33:34]
	s_delay_alu instid0(VALU_DEP_1) | instskip(SKIP_1) | instid1(VALU_DEP_1)
	v_fma_f64 v[6:7], v[23:24], v[31:32], -v[4:5]
	v_mul_f64_e32 v[4:5], v[23:24], v[33:34]
	v_fma_f64 v[4:5], v[25:26], v[31:32], v[4:5]
	s_clause 0x1
	global_load_b128 v[23:26], v145, s[8:9] offset:864
	global_load_b128 v[31:34], v145, s[8:9] offset:880
	s_wait_loadcnt 0x1
	v_mul_f64_e32 v[8:9], v[29:30], v[25:26]
	s_delay_alu instid0(VALU_DEP_1) | instskip(SKIP_1) | instid1(VALU_DEP_1)
	v_fma_f64 v[10:11], v[27:28], v[23:24], -v[8:9]
	v_mul_f64_e32 v[8:9], v[27:28], v[25:26]
	v_fma_f64 v[8:9], v[29:30], v[23:24], v[8:9]
	s_wait_loadcnt 0x0
	v_mul_f64_e32 v[23:24], v[80:81], v[33:34]
	s_delay_alu instid0(VALU_DEP_1) | instskip(SKIP_1) | instid1(VALU_DEP_1)
	v_fma_f64 v[25:26], v[78:79], v[31:32], -v[23:24]
	v_mul_f64_e32 v[23:24], v[78:79], v[33:34]
	v_fma_f64 v[23:24], v[80:81], v[31:32], v[23:24]
	s_clause 0x1
	global_load_b128 v[31:34], v145, s[8:9] offset:896
	global_load_b128 v[78:81], v145, s[8:9] offset:912
	s_wait_loadcnt 0x1
	v_mul_f64_e32 v[27:28], v[76:77], v[33:34]
	s_delay_alu instid0(VALU_DEP_1) | instskip(SKIP_1) | instid1(VALU_DEP_1)
	v_fma_f64 v[29:30], v[74:75], v[31:32], -v[27:28]
	v_mul_f64_e32 v[27:28], v[74:75], v[33:34]
	v_fma_f64 v[27:28], v[76:77], v[31:32], v[27:28]
	s_wait_loadcnt_dscnt 0x0
	v_mul_f64_e32 v[31:32], v[84:85], v[80:81]
	s_delay_alu instid0(VALU_DEP_1) | instskip(SKIP_3) | instid1(VALU_DEP_3)
	v_fma_f64 v[33:34], v[82:83], v[78:79], -v[31:32]
	v_mul_f64_e32 v[31:32], v[82:83], v[80:81]
	v_add_f64_e32 v[82:83], v[86:87], v[98:99]
	v_add_f64_e64 v[86:87], v[86:87], -v[98:99]
	v_fma_f64 v[31:32], v[84:85], v[78:79], v[31:32]
	s_delay_alu instid0(VALU_DEP_3) | instskip(NEXT) | instid1(VALU_DEP_3)
	v_add_f64_e32 v[74:75], v[82:83], v[171:172]
	v_add_f64_e64 v[102:103], v[90:91], -v[86:87]
	v_add_f64_e64 v[94:95], v[82:83], -v[171:172]
	;; [unrolled: 1-line block ×3, first 2 shown]
	v_add_f64_e32 v[82:83], v[90:91], v[86:87]
	v_add_f64_e64 v[104:105], v[86:87], -v[21:22]
	v_add_f64_e32 v[86:87], v[92:93], v[88:89]
	v_add_f64_e64 v[171:172], v[171:172], -v[173:174]
	v_add_f64_e32 v[84:85], v[173:174], v[74:75]
	v_add_f64_e32 v[74:75], v[177:178], v[175:176]
	v_add_f64_e64 v[177:178], v[92:93], -v[88:89]
	v_mul_f64_e32 v[102:103], s[18:19], v[102:103]
	v_add_f64_e64 v[173:174], v[175:176], -v[179:180]
	v_add_f64_e32 v[217:218], v[82:83], v[21:22]
	v_add_f64_e32 v[219:220], v[86:87], v[13:14]
	v_add_f64_e64 v[21:22], v[21:22], -v[90:91]
	v_add_f64_e64 v[13:14], v[13:14], -v[92:93]
	v_mul_f64_e32 v[90:91], s[12:13], v[104:105]
	v_mul_f64_e32 v[92:93], s[12:13], v[215:216]
	v_mul_f64_e32 v[82:83], s[4:5], v[98:99]
	v_mul_f64_e32 v[86:87], s[4:5], v[100:101]
	v_add_f64_e32 v[70:71], v[70:71], v[84:85]
	v_add_f64_e32 v[181:182], v[179:180], v[74:75]
	v_mul_f64_e32 v[177:178], s[18:19], v[177:178]
	v_add_f64_e32 v[74:75], v[185:186], v[183:184]
	v_add_f64_e64 v[183:184], v[183:184], -v[187:188]
	v_fma_f64 v[90:91], v[21:22], s[26:27], -v[90:91]
	v_fma_f64 v[92:93], v[13:14], s[26:27], -v[92:93]
	v_fma_f64 v[21:22], v[21:22], s[20:21], v[102:103]
	v_fma_f64 v[82:83], v[94:95], s[16:17], -v[82:83]
	v_fma_f64 v[86:87], v[96:97], s[16:17], -v[86:87]
	v_fma_f64 v[221:222], v[84:85], s[14:15], v[70:71]
	v_add_f64_e32 v[72:73], v[72:73], v[181:182]
	v_fma_f64 v[84:85], v[104:105], s[12:13], -v[102:103]
	v_mul_f64_e32 v[104:105], s[22:23], v[171:172]
	v_mul_f64_e32 v[171:172], s[22:23], v[173:174]
	v_fma_f64 v[13:14], v[13:14], s[20:21], v[177:178]
	v_add_f64_e32 v[189:190], v[187:188], v[74:75]
	v_add_f64_e32 v[74:75], v[193:194], v[191:192]
	v_fma_f64 v[173:174], v[217:218], s[10:11], v[90:91]
	v_fma_f64 v[175:176], v[219:220], s[10:11], v[92:93]
	;; [unrolled: 1-line block ×3, first 2 shown]
	v_add_f64_e32 v[225:226], v[82:83], v[221:222]
	v_fma_f64 v[181:182], v[181:182], s[14:15], v[72:73]
	v_fma_f64 v[88:89], v[217:218], s[10:11], v[84:85]
	;; [unrolled: 1-line block ×4, first 2 shown]
	s_wait_alu 0xfffe
	v_fma_f64 v[94:95], v[94:95], s[24:25], -v[104:105]
	v_fma_f64 v[13:14], v[219:220], s[10:11], v[13:14]
	v_fma_f64 v[96:97], v[96:97], s[24:25], -v[171:172]
	v_fma_f64 v[84:85], v[215:216], s[12:13], -v[177:178]
	v_add_f64_e32 v[197:198], v[195:196], v[74:75]
	ds_load_b128 v[74:77], v167
	ds_load_b128 v[78:81], v166
	s_wait_dscnt 0x1
	v_add_f64_e32 v[74:75], v[74:75], v[189:190]
	s_wait_dscnt 0x0
	v_add_f64_e32 v[78:79], v[78:79], v[205:206]
	v_add_f64_e32 v[80:81], v[80:81], v[213:214]
	;; [unrolled: 1-line block ×7, first 2 shown]
	v_fma_f64 v[223:224], v[219:220], s[10:11], v[84:85]
	v_add_f64_e32 v[76:77], v[76:77], v[197:198]
	v_fma_f64 v[179:180], v[189:190], s[14:15], v[74:75]
	v_add_f64_e32 v[84:85], v[88:89], v[227:228]
	v_add_f64_e64 v[88:89], v[227:228], -v[88:89]
	v_add_f64_e32 v[98:99], v[13:14], v[102:103]
	v_add_f64_e64 v[100:101], v[104:105], -v[21:22]
	v_add_f64_e64 v[102:103], v[102:103], -v[13:14]
	v_add_f64_e32 v[104:105], v[21:22], v[104:105]
	v_add_f64_e64 v[13:14], v[106:107], -v[118:119]
	v_add_f64_e64 v[21:22], v[114:115], -v[110:111]
	;; [unrolled: 1-line block ×7, first 2 shown]
	v_add_f64_e32 v[96:97], v[173:174], v[96:97]
	v_add_f64_e32 v[90:91], v[175:176], v[94:95]
	v_add_f64_e64 v[94:95], v[94:95], -v[175:176]
	v_add_f64_e64 v[120:121], v[193:194], -v[191:192]
	;; [unrolled: 1-line block ×3, first 2 shown]
	v_fma_f64 v[181:182], v[197:198], s[14:15], v[76:77]
	v_add_f64_e64 v[82:83], v[225:226], -v[223:224]
	v_add_f64_e32 v[86:87], v[223:224], v[225:226]
	v_add_f64_e64 v[106:107], v[21:22], -v[13:14]
	v_add_f64_e32 v[59:60], v[21:22], v[13:14]
	v_add_f64_e64 v[13:14], v[13:14], -v[110:111]
	v_add_f64_e64 v[124:125], v[112:113], -v[61:62]
	v_add_f64_e32 v[108:109], v[112:113], v[61:62]
	v_add_f64_e64 v[171:172], v[61:62], -v[114:115]
	v_add_f64_e64 v[21:22], v[110:111], -v[21:22]
	;; [unrolled: 1-line block ×3, first 2 shown]
	v_mul_f64_e32 v[61:62], s[4:5], v[122:123]
	v_mul_f64_e32 v[177:178], s[18:19], v[106:107]
	v_add_f64_e32 v[173:174], v[59:60], v[110:111]
	v_mul_f64_e32 v[59:60], s[4:5], v[118:119]
	v_mul_f64_e32 v[124:125], s[18:19], v[124:125]
	v_add_f64_e32 v[175:176], v[108:109], v[114:115]
	v_mul_f64_e32 v[110:111], s[12:13], v[171:172]
	v_fma_f64 v[61:62], v[120:121], s[16:17], -v[61:62]
	v_fma_f64 v[106:107], v[13:14], s[12:13], -v[177:178]
	v_mul_f64_e32 v[13:14], s[12:13], v[13:14]
	v_fma_f64 v[59:60], v[116:117], s[16:17], -v[59:60]
	v_fma_f64 v[110:111], v[187:188], s[26:27], -v[110:111]
	v_add_f64_e32 v[189:190], v[61:62], v[181:182]
	v_fma_f64 v[108:109], v[173:174], s[10:11], v[106:107]
	v_fma_f64 v[106:107], v[171:172], s[12:13], -v[124:125]
	v_add_f64_e32 v[185:186], v[59:60], v[179:180]
	v_mul_f64_e32 v[171:172], s[22:23], v[183:184]
	v_fma_f64 v[13:14], v[21:22], s[26:27], -v[13:14]
	v_add_f64_e32 v[61:62], v[108:109], v[189:190]
	v_fma_f64 v[106:107], v[175:176], s[10:11], v[106:107]
	v_add_f64_e64 v[108:109], v[189:190], -v[108:109]
	v_fma_f64 v[112:113], v[116:117], s[24:25], -v[171:172]
	v_fma_f64 v[13:14], v[173:174], s[10:11], v[13:14]
	v_fma_f64 v[116:117], v[175:176], s[10:11], v[110:111]
	;; [unrolled: 1-line block ×3, first 2 shown]
	v_add_f64_e64 v[59:60], v[185:186], -v[106:107]
	v_add_f64_e32 v[106:107], v[106:107], v[185:186]
	v_add_f64_e64 v[185:186], v[191:192], -v[195:196]
	s_delay_alu instid0(VALU_DEP_1) | instskip(NEXT) | instid1(VALU_DEP_1)
	v_mul_f64_e32 v[183:184], s[22:23], v[185:186]
	v_fma_f64 v[114:115], v[120:121], s[24:25], -v[183:184]
	v_add_f64_e32 v[120:121], v[112:113], v[179:180]
	s_delay_alu instid0(VALU_DEP_2) | instskip(NEXT) | instid1(VALU_DEP_2)
	v_add_f64_e32 v[185:186], v[114:115], v[181:182]
	v_add_f64_e32 v[110:111], v[116:117], v[120:121]
	v_add_f64_e64 v[114:115], v[120:121], -v[116:117]
	v_fma_f64 v[120:121], v[122:123], s[4:5], v[183:184]
	v_add_f64_e32 v[122:123], v[118:119], v[179:180]
	v_fma_f64 v[179:180], v[205:206], s[14:15], v[78:79]
	v_add_f64_e64 v[112:113], v[185:186], -v[13:14]
	v_add_f64_e32 v[116:117], v[13:14], v[185:186]
	v_fma_f64 v[13:14], v[21:22], s[20:21], v[177:178]
	v_fma_f64 v[21:22], v[187:188], s[20:21], v[124:125]
	v_add_f64_e32 v[124:125], v[120:121], v[181:182]
	v_fma_f64 v[181:182], v[213:214], s[14:15], v[80:81]
	s_delay_alu instid0(VALU_DEP_4) | instskip(NEXT) | instid1(VALU_DEP_4)
	v_fma_f64 v[13:14], v[173:174], s[10:11], v[13:14]
	v_fma_f64 v[21:22], v[175:176], s[10:11], v[21:22]
	s_delay_alu instid0(VALU_DEP_2) | instskip(NEXT) | instid1(VALU_DEP_2)
	v_add_f64_e64 v[120:121], v[124:125], -v[13:14]
	v_add_f64_e32 v[118:119], v[21:22], v[122:123]
	v_add_f64_e64 v[122:123], v[122:123], -v[21:22]
	v_add_f64_e32 v[124:125], v[13:14], v[124:125]
	v_add_f64_e64 v[13:14], v[126:127], -v[138:139]
	v_add_f64_e64 v[21:22], v[134:135], -v[130:131]
	;; [unrolled: 1-line block ×9, first 2 shown]
	v_add_f64_e32 v[63:64], v[21:22], v[13:14]
	v_add_f64_e64 v[13:14], v[13:14], -v[130:131]
	v_add_f64_e64 v[161:162], v[132:133], -v[65:66]
	v_add_f64_e32 v[128:129], v[132:133], v[65:66]
	v_add_f64_e64 v[171:172], v[65:66], -v[134:135]
	v_mul_f64_e32 v[65:66], s[4:5], v[142:143]
	v_add_f64_e64 v[21:22], v[130:131], -v[21:22]
	v_add_f64_e64 v[187:188], v[134:135], -v[132:133]
	v_mul_f64_e32 v[177:178], s[18:19], v[126:127]
	v_add_f64_e32 v[173:174], v[63:64], v[130:131]
	v_mul_f64_e32 v[63:64], s[4:5], v[138:139]
	v_mul_f64_e32 v[161:162], s[18:19], v[161:162]
	v_add_f64_e32 v[175:176], v[128:129], v[134:135]
	v_mul_f64_e32 v[130:131], s[12:13], v[171:172]
	v_fma_f64 v[65:66], v[140:141], s[16:17], -v[65:66]
	v_fma_f64 v[126:127], v[13:14], s[12:13], -v[177:178]
	v_mul_f64_e32 v[13:14], s[12:13], v[13:14]
	v_fma_f64 v[63:64], v[136:137], s[16:17], -v[63:64]
	v_fma_f64 v[130:131], v[187:188], s[26:27], -v[130:131]
	v_add_f64_e32 v[185:186], v[65:66], v[181:182]
	v_fma_f64 v[128:129], v[173:174], s[10:11], v[126:127]
	v_fma_f64 v[126:127], v[171:172], s[12:13], -v[161:162]
	v_add_f64_e32 v[183:184], v[63:64], v[179:180]
	v_fma_f64 v[13:14], v[21:22], s[26:27], -v[13:14]
	s_delay_alu instid0(VALU_DEP_4) | instskip(NEXT) | instid1(VALU_DEP_4)
	v_add_f64_e32 v[65:66], v[128:129], v[185:186]
	v_fma_f64 v[126:127], v[175:176], s[10:11], v[126:127]
	v_add_f64_e64 v[128:129], v[185:186], -v[128:129]
	v_add_f64_e64 v[185:186], v[207:208], -v[211:212]
	v_fma_f64 v[13:14], v[173:174], s[10:11], v[13:14]
	s_delay_alu instid0(VALU_DEP_4) | instskip(SKIP_2) | instid1(VALU_DEP_1)
	v_add_f64_e64 v[63:64], v[183:184], -v[126:127]
	v_add_f64_e32 v[126:127], v[126:127], v[183:184]
	v_add_f64_e64 v[183:184], v[199:200], -v[203:204]
	v_mul_f64_e32 v[171:172], s[22:23], v[183:184]
	v_mul_f64_e32 v[183:184], s[22:23], v[185:186]
	s_delay_alu instid0(VALU_DEP_2) | instskip(NEXT) | instid1(VALU_DEP_2)
	v_fma_f64 v[132:133], v[136:137], s[24:25], -v[171:172]
	v_fma_f64 v[134:135], v[140:141], s[24:25], -v[183:184]
	v_fma_f64 v[136:137], v[175:176], s[10:11], v[130:131]
	v_fma_f64 v[138:139], v[138:139], s[4:5], v[171:172]
	s_delay_alu instid0(VALU_DEP_4) | instskip(NEXT) | instid1(VALU_DEP_4)
	v_add_f64_e32 v[140:141], v[132:133], v[179:180]
	v_add_f64_e32 v[185:186], v[134:135], v[181:182]
	s_delay_alu instid0(VALU_DEP_2) | instskip(NEXT) | instid1(VALU_DEP_2)
	v_add_f64_e32 v[130:131], v[136:137], v[140:141]
	v_add_f64_e64 v[132:133], v[185:186], -v[13:14]
	v_add_f64_e64 v[134:135], v[140:141], -v[136:137]
	v_add_f64_e32 v[136:137], v[13:14], v[185:186]
	v_fma_f64 v[13:14], v[21:22], s[20:21], v[177:178]
	v_fma_f64 v[21:22], v[187:188], s[20:21], v[161:162]
	;; [unrolled: 1-line block ×3, first 2 shown]
	v_add_f64_e32 v[142:143], v[138:139], v[179:180]
	v_add_f64_e32 v[183:184], v[35:36], v[55:56]
	;; [unrolled: 1-line block ×4, first 2 shown]
	v_add_f64_e64 v[43:44], v[47:48], -v[43:44]
	v_add_f64_e64 v[47:48], v[35:36], -v[55:56]
	v_fma_f64 v[13:14], v[173:174], s[10:11], v[13:14]
	v_fma_f64 v[21:22], v[175:176], s[10:11], v[21:22]
	v_add_f64_e32 v[161:162], v[140:141], v[181:182]
	v_add_f64_e32 v[175:176], v[185:186], v[183:184]
	v_add_f64_e64 v[55:56], v[187:188], -v[185:186]
	s_delay_alu instid0(VALU_DEP_4) | instskip(NEXT) | instid1(VALU_DEP_4)
	v_add_f64_e32 v[138:139], v[21:22], v[142:143]
	v_add_f64_e64 v[140:141], v[161:162], -v[13:14]
	v_add_f64_e64 v[171:172], v[142:143], -v[21:22]
	v_add_f64_e32 v[173:174], v[13:14], v[161:162]
	v_add_f64_e32 v[13:14], v[37:38], v[57:58]
	;; [unrolled: 1-line block ×4, first 2 shown]
	v_add_f64_e64 v[41:42], v[41:42], -v[53:54]
	v_add_f64_e64 v[45:46], v[49:50], -v[45:46]
	;; [unrolled: 1-line block ×4, first 2 shown]
	v_add_f64_e32 v[189:190], v[187:188], v[175:176]
	ds_load_b128 v[175:178], v165
	ds_load_b128 v[179:182], v164
	global_wb scope:SCOPE_SE
	s_wait_dscnt 0x0
	s_barrier_signal -1
	s_barrier_wait -1
	global_inv scope:SCOPE_SE
	ds_store_b128 v163, v[70:73]
	ds_store_b128 v163, v[98:101] offset:896
	ds_store_b128 v163, v[90:93] offset:1792
	;; [unrolled: 1-line block ×7, first 2 shown]
	ds_store_b128 v168, v[118:121]
	ds_store_b128 v163, v[110:113] offset:8064
	ds_store_b128 v163, v[59:62] offset:8960
	;; [unrolled: 1-line block ×5, first 2 shown]
	v_lshl_add_u32 v59, v69, 4, 0
	ds_store_b128 v59, v[78:81] offset:12544
	ds_store_b128 v59, v[138:141] offset:13440
	;; [unrolled: 1-line block ×6, first 2 shown]
	v_lshl_add_u32 v80, v68, 4, 0
	v_add_f64_e64 v[53:54], v[185:186], -v[183:184]
	ds_store_b128 v59, v[171:174] offset:17920
	v_add_f64_e64 v[78:79], v[47:48], -v[43:44]
	v_add_f64_e32 v[161:162], v[21:22], v[13:14]
	v_add_f64_e64 v[51:52], v[21:22], -v[13:14]
	v_add_f64_e64 v[21:22], v[142:143], -v[21:22]
	v_add_f64_e64 v[39:40], v[45:46], -v[41:42]
	v_add_f64_e32 v[35:36], v[45:46], v[41:42]
	v_add_f64_e64 v[57:58], v[41:42], -v[49:50]
	v_add_f64_e64 v[59:60], v[43:44], -v[37:38]
	v_add_f64_e32 v[41:42], v[43:44], v[37:38]
	v_add_f64_e64 v[61:62], v[37:38], -v[47:48]
	v_add_f64_e32 v[177:178], v[177:178], v[189:190]
	v_mul_f64_e32 v[37:38], s[4:5], v[55:56]
	v_add_f64_e64 v[13:14], v[13:14], -v[142:143]
	v_add_f64_e32 v[161:162], v[142:143], v[161:162]
	v_mul_f64_e32 v[68:69], s[18:19], v[39:40]
	v_add_f64_e32 v[63:64], v[35:36], v[49:50]
	v_mul_f64_e32 v[35:36], s[4:5], v[21:22]
	v_mul_f64_e32 v[59:60], s[18:19], v[59:60]
	v_add_f64_e32 v[65:66], v[41:42], v[47:48]
	v_mul_f64_e32 v[43:44], s[12:13], v[57:58]
	v_fma_f64 v[72:73], v[189:190], s[14:15], v[177:178]
	v_fma_f64 v[37:38], v[53:54], s[16:17], -v[37:38]
	v_mul_f64_e32 v[13:14], s[22:23], v[13:14]
	v_add_f64_e32 v[175:176], v[175:176], v[161:162]
	v_fma_f64 v[39:40], v[57:58], s[12:13], -v[68:69]
	v_fma_f64 v[35:36], v[51:52], s[16:17], -v[35:36]
	v_add_f64_e32 v[76:77], v[37:38], v[72:73]
	v_fma_f64 v[47:48], v[51:52], s[24:25], -v[13:14]
	v_fma_f64 v[13:14], v[21:22], s[4:5], v[13:14]
	v_fma_f64 v[70:71], v[161:162], s[14:15], v[175:176]
	;; [unrolled: 1-line block ×3, first 2 shown]
	v_fma_f64 v[39:40], v[61:62], s[12:13], -v[59:60]
	s_delay_alu instid0(VALU_DEP_3)
	v_add_f64_e32 v[74:75], v[35:36], v[70:71]
	v_add_f64_e32 v[47:48], v[47:48], v[70:71]
	;; [unrolled: 1-line block ×4, first 2 shown]
	v_fma_f64 v[39:40], v[65:66], s[10:11], v[39:40]
	v_add_f64_e64 v[41:42], v[76:77], -v[41:42]
	v_add_f64_e64 v[76:77], v[49:50], -v[45:46]
	v_mul_f64_e32 v[45:46], s[12:13], v[61:62]
	s_delay_alu instid0(VALU_DEP_4) | instskip(SKIP_4) | instid1(VALU_DEP_3)
	v_add_f64_e64 v[35:36], v[74:75], -v[39:40]
	v_add_f64_e32 v[39:40], v[39:40], v[74:75]
	v_add_f64_e64 v[74:75], v[183:184], -v[187:188]
	v_fma_f64 v[43:44], v[76:77], s[26:27], -v[43:44]
	v_fma_f64 v[45:46], v[78:79], s[26:27], -v[45:46]
	v_mul_f64_e32 v[57:58], s[22:23], v[74:75]
	s_delay_alu instid0(VALU_DEP_3) | instskip(NEXT) | instid1(VALU_DEP_2)
	v_fma_f64 v[51:52], v[63:64], s[10:11], v[43:44]
	v_fma_f64 v[49:50], v[53:54], s[24:25], -v[57:58]
	s_delay_alu instid0(VALU_DEP_4) | instskip(SKIP_1) | instid1(VALU_DEP_3)
	v_fma_f64 v[53:54], v[65:66], s[10:11], v[45:46]
	v_fma_f64 v[21:22], v[55:56], s[4:5], v[57:58]
	v_add_f64_e32 v[49:50], v[49:50], v[72:73]
	s_delay_alu instid0(VALU_DEP_3)
	v_add_f64_e32 v[43:44], v[53:54], v[47:48]
	v_add_f64_e64 v[47:48], v[47:48], -v[53:54]
	v_fma_f64 v[53:54], v[78:79], s[20:21], v[59:60]
	v_add_f64_e32 v[21:22], v[21:22], v[72:73]
	v_add_f64_e64 v[45:46], v[49:50], -v[51:52]
	v_add_f64_e32 v[49:50], v[51:52], v[49:50]
	v_fma_f64 v[51:52], v[76:77], s[20:21], v[68:69]
	v_fma_f64 v[55:56], v[65:66], s[10:11], v[53:54]
	s_delay_alu instid0(VALU_DEP_2) | instskip(NEXT) | instid1(VALU_DEP_2)
	v_fma_f64 v[57:58], v[63:64], s[10:11], v[51:52]
	v_add_f64_e32 v[51:52], v[55:56], v[13:14]
	v_add_f64_e64 v[55:56], v[13:14], -v[55:56]
	v_add_f64_e32 v[13:14], v[2:3], v[33:34]
	s_delay_alu instid0(VALU_DEP_4)
	v_add_f64_e64 v[53:54], v[21:22], -v[57:58]
	v_add_f64_e32 v[57:58], v[57:58], v[21:22]
	v_add_f64_e32 v[21:22], v[6:7], v[29:30]
	ds_store_b128 v80, v[175:178] offset:18816
	ds_store_b128 v80, v[51:54] offset:19712
	;; [unrolled: 1-line block ×7, first 2 shown]
	v_add_f64_e32 v[39:40], v[10:11], v[25:26]
	v_add_f64_e32 v[43:44], v[0:1], v[31:32]
	;; [unrolled: 1-line block ×4, first 2 shown]
	v_add_f64_e64 v[6:7], v[6:7], -v[29:30]
	v_add_f64_e64 v[10:11], v[25:26], -v[10:11]
	v_add_f64_e32 v[47:48], v[8:9], v[23:24]
	v_add_f64_e64 v[25:26], v[2:3], -v[33:34]
	v_add_f64_e64 v[2:3], v[4:5], -v[27:28]
	;; [unrolled: 1-line block ×7, first 2 shown]
	v_add_f64_e32 v[41:42], v[39:40], v[35:36]
	v_add_f64_e32 v[35:36], v[45:46], v[43:44]
	v_add_f64_e64 v[21:22], v[45:46], -v[43:44]
	v_add_f64_e64 v[4:5], v[10:11], -v[6:7]
	;; [unrolled: 1-line block ×3, first 2 shown]
	v_add_f64_e32 v[0:1], v[10:11], v[6:7]
	v_add_f64_e64 v[33:34], v[6:7], -v[25:26]
	v_add_f64_e64 v[39:40], v[43:44], -v[47:48]
	;; [unrolled: 1-line block ×3, first 2 shown]
	v_add_f64_e32 v[6:7], v[8:9], v[2:3]
	v_add_f64_e64 v[45:46], v[8:9], -v[2:3]
	v_add_f64_e64 v[43:44], v[23:24], -v[8:9]
	v_mul_f64_e32 v[13:14], s[22:23], v[13:14]
	v_add_f64_e32 v[49:50], v[47:48], v[35:36]
	v_add_f64_e32 v[35:36], v[179:180], v[41:42]
	v_mul_f64_e32 v[57:58], s[18:19], v[4:5]
	v_mul_f64_e32 v[2:3], s[4:5], v[31:32]
	v_add_f64_e32 v[53:54], v[0:1], v[25:26]
	v_add_f64_e64 v[25:26], v[25:26], -v[10:11]
	v_mul_f64_e32 v[8:9], s[12:13], v[33:34]
	v_mul_f64_e32 v[10:11], s[12:13], v[51:52]
	v_add_f64_e32 v[55:56], v[6:7], v[23:24]
	v_mul_f64_e32 v[0:1], s[4:5], v[29:30]
	v_mul_f64_e32 v[45:46], s[18:19], v[45:46]
	v_fma_f64 v[23:24], v[27:28], s[24:25], -v[13:14]
	v_fma_f64 v[13:14], v[29:30], s[4:5], v[13:14]
	v_add_f64_e32 v[37:38], v[181:182], v[49:50]
	v_fma_f64 v[41:42], v[41:42], s[14:15], v[35:36]
	v_fma_f64 v[4:5], v[33:34], s[12:13], -v[57:58]
	v_mul_f64_e32 v[33:34], s[22:23], v[39:40]
	v_fma_f64 v[2:3], v[21:22], s[16:17], -v[2:3]
	v_fma_f64 v[8:9], v[25:26], s[26:27], -v[8:9]
	;; [unrolled: 1-line block ×3, first 2 shown]
	v_fma_f64 v[25:26], v[25:26], s[20:21], v[57:58]
	v_fma_f64 v[0:1], v[27:28], s[16:17], -v[0:1]
	s_mov_b32 s16, 0x372fe950
	s_mov_b32 s17, 0x3fd3c6ef
	v_fma_f64 v[49:50], v[49:50], s[14:15], v[37:38]
	v_add_f64_e32 v[23:24], v[23:24], v[41:42]
	v_fma_f64 v[6:7], v[53:54], s[10:11], v[4:5]
	v_fma_f64 v[21:22], v[21:22], s[24:25], -v[33:34]
	v_fma_f64 v[29:30], v[31:32], s[4:5], v[33:34]
	v_fma_f64 v[4:5], v[51:52], s[12:13], -v[45:46]
	v_fma_f64 v[27:28], v[53:54], s[10:11], v[8:9]
	v_fma_f64 v[39:40], v[55:56], s[10:11], v[10:11]
	;; [unrolled: 1-line block ×3, first 2 shown]
	v_add_f64_e32 v[13:14], v[13:14], v[41:42]
	v_add_f64_e32 v[59:60], v[0:1], v[41:42]
	s_mov_b32 s12, 0x134454ff
	s_mov_b32 s13, 0x3fee6f0e
	;; [unrolled: 1-line block ×3, first 2 shown]
	s_wait_alu 0xfffe
	s_mov_b32 s14, s12
	s_mov_b32 s4, 0x4755a5e
	;; [unrolled: 1-line block ×3, first 2 shown]
	v_add_f64_e32 v[61:62], v[2:3], v[49:50]
	v_add_f64_e32 v[47:48], v[21:22], v[49:50]
	v_fma_f64 v[4:5], v[55:56], s[10:11], v[4:5]
	v_add_f64_e32 v[8:9], v[39:40], v[23:24]
	v_add_f64_e64 v[21:22], v[23:24], -v[39:40]
	v_add_f64_e32 v[39:40], v[29:30], v[49:50]
	v_add_f64_e32 v[2:3], v[6:7], v[61:62]
	v_add_f64_e64 v[6:7], v[61:62], -v[6:7]
	v_add_f64_e64 v[10:11], v[47:48], -v[27:28]
	v_add_f64_e32 v[23:24], v[27:28], v[47:48]
	v_fma_f64 v[27:28], v[43:44], s[20:21], v[45:46]
	v_add_f64_e64 v[0:1], v[59:60], -v[4:5]
	v_add_f64_e32 v[4:5], v[4:5], v[59:60]
	s_delay_alu instid0(VALU_DEP_3)
	v_fma_f64 v[33:34], v[55:56], s[10:11], v[27:28]
	v_add_f64_e64 v[27:28], v[39:40], -v[31:32]
	v_add_f64_e32 v[31:32], v[31:32], v[39:40]
	s_mov_b32 s11, 0xbfe2cf23
	s_wait_alu 0xfffe
	s_mov_b32 s10, s4
	s_delay_alu instid0(VALU_DEP_3)
	v_add_f64_e32 v[25:26], v[33:34], v[13:14]
	v_add_f64_e64 v[29:30], v[13:14], -v[33:34]
	v_lshl_add_u32 v13, v15, 4, 0
	ds_store_b128 v13, v[35:38] offset:25088
	ds_store_b128 v13, v[25:28] offset:25984
	;; [unrolled: 1-line block ×7, first 2 shown]
	v_mov_b32_e32 v13, v160
	global_wb scope:SCOPE_SE
	s_wait_dscnt 0x0
	s_barrier_signal -1
	s_barrier_wait -1
	global_inv scope:SCOPE_SE
	v_lshlrev_b64_e32 v[0:1], 4, v[12:13]
	s_delay_alu instid0(VALU_DEP_1) | instskip(SKIP_1) | instid1(VALU_DEP_2)
	v_add_co_u32 v21, s1, s8, v0
	s_wait_alu 0xf1ff
	v_add_co_ci_u32_e64 v22, s1, s9, v1, s1
	s_clause 0x1
	global_load_b128 v[0:3], v[21:22], off offset:6208
	global_load_b128 v[4:7], v[21:22], off offset:6224
	ds_load_b128 v[8:11], v169
	ds_load_b128 v[12:15], v170
	s_wait_loadcnt_dscnt 0x101
	v_mul_f64_e32 v[23:24], v[10:11], v[2:3]
	v_mul_f64_e32 v[2:3], v[8:9], v[2:3]
	s_delay_alu instid0(VALU_DEP_2) | instskip(NEXT) | instid1(VALU_DEP_2)
	v_fma_f64 v[45:46], v[8:9], v[0:1], -v[23:24]
	v_fma_f64 v[47:48], v[10:11], v[0:1], v[2:3]
	ds_load_b128 v[0:3], v163 offset:12544
	ds_load_b128 v[8:11], v163 offset:11648
	s_wait_loadcnt_dscnt 0x1
	v_mul_f64_e32 v[23:24], v[2:3], v[6:7]
	s_delay_alu instid0(VALU_DEP_1) | instskip(SKIP_1) | instid1(VALU_DEP_1)
	v_fma_f64 v[49:50], v[0:1], v[4:5], -v[23:24]
	v_mul_f64_e32 v[0:1], v[0:1], v[6:7]
	v_fma_f64 v[51:52], v[2:3], v[4:5], v[0:1]
	s_clause 0x1
	global_load_b128 v[0:3], v[21:22], off offset:6240
	global_load_b128 v[4:7], v[21:22], off offset:6256
	ds_load_b128 v[21:24], v163 offset:18816
	ds_load_b128 v[25:28], v163 offset:19712
	s_wait_loadcnt_dscnt 0x101
	v_mul_f64_e32 v[29:30], v[23:24], v[2:3]
	v_mul_f64_e32 v[2:3], v[21:22], v[2:3]
	s_delay_alu instid0(VALU_DEP_2) | instskip(NEXT) | instid1(VALU_DEP_2)
	v_fma_f64 v[53:54], v[21:22], v[0:1], -v[29:30]
	v_fma_f64 v[55:56], v[23:24], v[0:1], v[2:3]
	ds_load_b128 v[0:3], v163 offset:25088
	ds_load_b128 v[29:32], v163 offset:24192
	s_wait_loadcnt_dscnt 0x1
	v_mul_f64_e32 v[21:22], v[2:3], v[6:7]
	s_delay_alu instid0(VALU_DEP_1) | instskip(SKIP_2) | instid1(VALU_DEP_2)
	v_fma_f64 v[57:58], v[0:1], v[4:5], -v[21:22]
	v_mul_f64_e32 v[0:1], v[0:1], v[6:7]
	v_mov_b32_e32 v21, v160
	v_fma_f64 v[59:60], v[2:3], v[4:5], v[0:1]
	s_delay_alu instid0(VALU_DEP_2) | instskip(NEXT) | instid1(VALU_DEP_1)
	v_lshlrev_b64_e32 v[0:1], 4, v[20:21]
	v_add_co_u32 v37, s1, s8, v0
	s_wait_alu 0xf1ff
	s_delay_alu instid0(VALU_DEP_2)
	v_add_co_ci_u32_e64 v38, s1, s9, v1, s1
	s_clause 0x1
	global_load_b128 v[0:3], v[37:38], off offset:6208
	global_load_b128 v[4:7], v[37:38], off offset:6224
	ds_load_b128 v[20:23], v163 offset:7168
	ds_load_b128 v[33:36], v163
	s_wait_loadcnt_dscnt 0x101
	v_mul_f64_e32 v[39:40], v[22:23], v[2:3]
	v_mul_f64_e32 v[2:3], v[20:21], v[2:3]
	s_delay_alu instid0(VALU_DEP_2) | instskip(NEXT) | instid1(VALU_DEP_2)
	v_fma_f64 v[61:62], v[20:21], v[0:1], -v[39:40]
	v_fma_f64 v[63:64], v[22:23], v[0:1], v[2:3]
	ds_load_b128 v[0:3], v163 offset:13440
	ds_load_b128 v[21:24], v163 offset:14336
	v_mov_b32_e32 v20, v160
	s_wait_loadcnt_dscnt 0x1
	v_mul_f64_e32 v[39:40], v[2:3], v[6:7]
	s_delay_alu instid0(VALU_DEP_1) | instskip(SKIP_1) | instid1(VALU_DEP_1)
	v_fma_f64 v[65:66], v[0:1], v[4:5], -v[39:40]
	v_mul_f64_e32 v[0:1], v[0:1], v[6:7]
	v_fma_f64 v[68:69], v[2:3], v[4:5], v[0:1]
	s_clause 0x1
	global_load_b128 v[0:3], v[37:38], off offset:6240
	global_load_b128 v[4:7], v[37:38], off offset:6256
	s_wait_loadcnt 0x1
	v_mul_f64_e32 v[37:38], v[27:28], v[2:3]
	v_mul_f64_e32 v[2:3], v[25:26], v[2:3]
	s_delay_alu instid0(VALU_DEP_2) | instskip(NEXT) | instid1(VALU_DEP_2)
	v_fma_f64 v[70:71], v[25:26], v[0:1], -v[37:38]
	v_fma_f64 v[72:73], v[27:28], v[0:1], v[2:3]
	ds_load_b128 v[0:3], v163 offset:25984
	ds_load_b128 v[25:28], v163 offset:26880
	s_wait_loadcnt_dscnt 0x1
	v_mul_f64_e32 v[37:38], v[2:3], v[6:7]
	s_delay_alu instid0(VALU_DEP_1) | instskip(SKIP_1) | instid1(VALU_DEP_1)
	v_fma_f64 v[74:75], v[0:1], v[4:5], -v[37:38]
	v_mul_f64_e32 v[0:1], v[0:1], v[6:7]
	v_fma_f64 v[76:77], v[2:3], v[4:5], v[0:1]
	v_lshlrev_b64_e32 v[0:1], 4, v[19:20]
	s_delay_alu instid0(VALU_DEP_1) | instskip(SKIP_1) | instid1(VALU_DEP_2)
	v_add_co_u32 v19, s1, s8, v0
	s_wait_alu 0xf1ff
	v_add_co_ci_u32_e64 v20, s1, s9, v1, s1
	s_clause 0x1
	global_load_b128 v[0:3], v[19:20], off offset:6208
	global_load_b128 v[4:7], v[19:20], off offset:6224
	ds_load_b128 v[37:40], v163 offset:8064
	ds_load_b128 v[41:44], v163 offset:8960
	s_wait_loadcnt_dscnt 0x101
	v_mul_f64_e32 v[78:79], v[39:40], v[2:3]
	v_mul_f64_e32 v[2:3], v[37:38], v[2:3]
	s_delay_alu instid0(VALU_DEP_2) | instskip(NEXT) | instid1(VALU_DEP_2)
	v_fma_f64 v[78:79], v[37:38], v[0:1], -v[78:79]
	v_fma_f64 v[80:81], v[39:40], v[0:1], v[2:3]
	s_wait_loadcnt 0x0
	v_mul_f64_e32 v[0:1], v[23:24], v[6:7]
	s_delay_alu instid0(VALU_DEP_1) | instskip(SKIP_1) | instid1(VALU_DEP_1)
	v_fma_f64 v[82:83], v[21:22], v[4:5], -v[0:1]
	v_mul_f64_e32 v[0:1], v[21:22], v[6:7]
	v_fma_f64 v[84:85], v[23:24], v[4:5], v[0:1]
	s_clause 0x1
	global_load_b128 v[0:3], v[19:20], off offset:6240
	global_load_b128 v[4:7], v[19:20], off offset:6256
	ds_load_b128 v[19:22], v163 offset:20608
	ds_load_b128 v[37:40], v163 offset:21504
	s_wait_loadcnt_dscnt 0x101
	v_mul_f64_e32 v[23:24], v[21:22], v[2:3]
	v_mul_f64_e32 v[2:3], v[19:20], v[2:3]
	s_delay_alu instid0(VALU_DEP_2) | instskip(NEXT) | instid1(VALU_DEP_2)
	v_fma_f64 v[86:87], v[19:20], v[0:1], -v[23:24]
	v_fma_f64 v[88:89], v[21:22], v[0:1], v[2:3]
	s_wait_loadcnt 0x0
	v_mul_f64_e32 v[0:1], v[27:28], v[6:7]
	v_mov_b32_e32 v19, v160
	s_delay_alu instid0(VALU_DEP_2) | instskip(SKIP_1) | instid1(VALU_DEP_1)
	v_fma_f64 v[90:91], v[25:26], v[4:5], -v[0:1]
	v_mul_f64_e32 v[0:1], v[25:26], v[6:7]
	v_fma_f64 v[92:93], v[27:28], v[4:5], v[0:1]
	s_delay_alu instid0(VALU_DEP_4) | instskip(NEXT) | instid1(VALU_DEP_1)
	v_lshlrev_b64_e32 v[0:1], 4, v[18:19]
	v_add_co_u32 v23, s1, s8, v0
	s_wait_alu 0xf1ff
	s_delay_alu instid0(VALU_DEP_2)
	v_add_co_ci_u32_e64 v24, s1, s9, v1, s1
	s_clause 0x1
	global_load_b128 v[0:3], v[23:24], off offset:6208
	global_load_b128 v[4:7], v[23:24], off offset:6224
	s_wait_loadcnt 0x1
	v_mul_f64_e32 v[18:19], v[43:44], v[2:3]
	v_mul_f64_e32 v[2:3], v[41:42], v[2:3]
	s_delay_alu instid0(VALU_DEP_2) | instskip(NEXT) | instid1(VALU_DEP_2)
	v_fma_f64 v[94:95], v[41:42], v[0:1], -v[18:19]
	v_fma_f64 v[96:97], v[43:44], v[0:1], v[2:3]
	ds_load_b128 v[0:3], v163 offset:15232
	ds_load_b128 v[19:22], v163 offset:16128
	v_mov_b32_e32 v18, v160
	s_wait_loadcnt_dscnt 0x1
	v_mul_f64_e32 v[25:26], v[2:3], v[6:7]
	s_delay_alu instid0(VALU_DEP_1) | instskip(SKIP_1) | instid1(VALU_DEP_1)
	v_fma_f64 v[98:99], v[0:1], v[4:5], -v[25:26]
	v_mul_f64_e32 v[0:1], v[0:1], v[6:7]
	v_fma_f64 v[100:101], v[2:3], v[4:5], v[0:1]
	s_clause 0x1
	global_load_b128 v[0:3], v[23:24], off offset:6240
	global_load_b128 v[4:7], v[23:24], off offset:6256
	s_wait_loadcnt 0x1
	v_mul_f64_e32 v[23:24], v[39:40], v[2:3]
	v_mul_f64_e32 v[2:3], v[37:38], v[2:3]
	s_delay_alu instid0(VALU_DEP_2) | instskip(NEXT) | instid1(VALU_DEP_2)
	v_fma_f64 v[102:103], v[37:38], v[0:1], -v[23:24]
	v_fma_f64 v[104:105], v[39:40], v[0:1], v[2:3]
	ds_load_b128 v[0:3], v163 offset:27776
	ds_load_b128 v[23:26], v163 offset:28672
	s_wait_loadcnt_dscnt 0x1
	v_mul_f64_e32 v[27:28], v[2:3], v[6:7]
	s_delay_alu instid0(VALU_DEP_1) | instskip(SKIP_1) | instid1(VALU_DEP_1)
	v_fma_f64 v[106:107], v[0:1], v[4:5], -v[27:28]
	v_mul_f64_e32 v[0:1], v[0:1], v[6:7]
	v_fma_f64 v[108:109], v[2:3], v[4:5], v[0:1]
	v_lshlrev_b64_e32 v[0:1], 4, v[17:18]
	s_delay_alu instid0(VALU_DEP_1) | instskip(SKIP_1) | instid1(VALU_DEP_2)
	v_add_co_u32 v17, s1, s8, v0
	s_wait_alu 0xf1ff
	v_add_co_ci_u32_e64 v18, s1, s9, v1, s1
	s_clause 0x1
	global_load_b128 v[0:3], v[17:18], off offset:6208
	global_load_b128 v[4:7], v[17:18], off offset:6224
	ds_load_b128 v[37:40], v163 offset:9856
	ds_load_b128 v[41:44], v163 offset:10752
	s_wait_loadcnt_dscnt 0x101
	v_mul_f64_e32 v[27:28], v[39:40], v[2:3]
	v_mul_f64_e32 v[2:3], v[37:38], v[2:3]
	s_delay_alu instid0(VALU_DEP_2) | instskip(NEXT) | instid1(VALU_DEP_2)
	v_fma_f64 v[110:111], v[37:38], v[0:1], -v[27:28]
	v_fma_f64 v[112:113], v[39:40], v[0:1], v[2:3]
	s_wait_loadcnt 0x0
	v_mul_f64_e32 v[0:1], v[21:22], v[6:7]
	s_delay_alu instid0(VALU_DEP_1) | instskip(SKIP_1) | instid1(VALU_DEP_1)
	v_fma_f64 v[114:115], v[19:20], v[4:5], -v[0:1]
	v_mul_f64_e32 v[0:1], v[19:20], v[6:7]
	v_fma_f64 v[116:117], v[21:22], v[4:5], v[0:1]
	s_clause 0x1
	global_load_b128 v[0:3], v[17:18], off offset:6240
	global_load_b128 v[4:7], v[17:18], off offset:6256
	ds_load_b128 v[17:20], v163 offset:22400
	ds_load_b128 v[37:40], v163 offset:23296
	s_wait_loadcnt_dscnt 0x101
	v_mul_f64_e32 v[21:22], v[19:20], v[2:3]
	v_mul_f64_e32 v[2:3], v[17:18], v[2:3]
	s_delay_alu instid0(VALU_DEP_2) | instskip(SKIP_1) | instid1(VALU_DEP_3)
	v_fma_f64 v[118:119], v[17:18], v[0:1], -v[21:22]
	v_mov_b32_e32 v17, v160
	v_fma_f64 v[120:121], v[19:20], v[0:1], v[2:3]
	s_wait_loadcnt 0x0
	v_mul_f64_e32 v[0:1], v[25:26], v[6:7]
	s_delay_alu instid0(VALU_DEP_1) | instskip(SKIP_1) | instid1(VALU_DEP_1)
	v_fma_f64 v[122:123], v[23:24], v[4:5], -v[0:1]
	v_mul_f64_e32 v[0:1], v[23:24], v[6:7]
	v_fma_f64 v[124:125], v[25:26], v[4:5], v[0:1]
	v_lshlrev_b64_e32 v[0:1], 4, v[16:17]
	s_delay_alu instid0(VALU_DEP_1) | instskip(SKIP_1) | instid1(VALU_DEP_2)
	v_add_co_u32 v20, s1, s8, v0
	s_wait_alu 0xf1ff
	v_add_co_ci_u32_e64 v21, s1, s9, v1, s1
	s_clause 0x1
	global_load_b128 v[0:3], v[20:21], off offset:6208
	global_load_b128 v[4:7], v[20:21], off offset:6224
	s_wait_loadcnt 0x1
	v_mul_f64_e32 v[16:17], v[43:44], v[2:3]
	v_mul_f64_e32 v[2:3], v[41:42], v[2:3]
	s_delay_alu instid0(VALU_DEP_2) | instskip(NEXT) | instid1(VALU_DEP_2)
	v_fma_f64 v[126:127], v[41:42], v[0:1], -v[16:17]
	v_fma_f64 v[128:129], v[43:44], v[0:1], v[2:3]
	ds_load_b128 v[0:3], v163 offset:17024
	ds_load_b128 v[16:19], v163 offset:17920
	s_wait_loadcnt_dscnt 0x1
	v_mul_f64_e32 v[22:23], v[2:3], v[6:7]
	s_delay_alu instid0(VALU_DEP_1) | instskip(SKIP_1) | instid1(VALU_DEP_1)
	v_fma_f64 v[130:131], v[0:1], v[4:5], -v[22:23]
	v_mul_f64_e32 v[0:1], v[0:1], v[6:7]
	v_fma_f64 v[132:133], v[2:3], v[4:5], v[0:1]
	s_clause 0x1
	global_load_b128 v[0:3], v[20:21], off offset:6240
	global_load_b128 v[4:7], v[20:21], off offset:6256
	s_wait_loadcnt 0x1
	v_mul_f64_e32 v[20:21], v[39:40], v[2:3]
	v_mul_f64_e32 v[2:3], v[37:38], v[2:3]
	s_delay_alu instid0(VALU_DEP_2) | instskip(NEXT) | instid1(VALU_DEP_2)
	v_fma_f64 v[134:135], v[37:38], v[0:1], -v[20:21]
	v_fma_f64 v[136:137], v[39:40], v[0:1], v[2:3]
	ds_load_b128 v[0:3], v163 offset:29568
	ds_load_b128 v[20:23], v163 offset:30464
	s_wait_loadcnt_dscnt 0x1
	v_mul_f64_e32 v[24:25], v[2:3], v[6:7]
	v_add_f64_e64 v[183:184], v[130:131], -v[134:135]
	s_delay_alu instid0(VALU_DEP_2) | instskip(SKIP_1) | instid1(VALU_DEP_2)
	v_fma_f64 v[138:139], v[0:1], v[4:5], -v[24:25]
	v_mul_f64_e32 v[0:1], v[0:1], v[6:7]
	v_add_f64_e64 v[181:182], v[126:127], -v[138:139]
	s_delay_alu instid0(VALU_DEP_2) | instskip(SKIP_1) | instid1(VALU_DEP_1)
	v_fma_f64 v[140:141], v[2:3], v[4:5], v[0:1]
	v_lshlrev_b64_e32 v[0:1], 4, v[159:160]
	v_add_co_u32 v24, s1, s8, v0
	s_wait_alu 0xf1ff
	s_delay_alu instid0(VALU_DEP_2)
	v_add_co_ci_u32_e64 v25, s1, s9, v1, s1
	s_clause 0x1
	global_load_b128 v[0:3], v[24:25], off offset:6208
	global_load_b128 v[4:7], v[24:25], off offset:6224
	s_wait_loadcnt 0x1
	v_mul_f64_e32 v[26:27], v[10:11], v[2:3]
	v_mul_f64_e32 v[2:3], v[8:9], v[2:3]
	s_delay_alu instid0(VALU_DEP_2) | instskip(NEXT) | instid1(VALU_DEP_2)
	v_fma_f64 v[142:143], v[8:9], v[0:1], -v[26:27]
	v_fma_f64 v[159:160], v[10:11], v[0:1], v[2:3]
	s_wait_loadcnt 0x0
	v_mul_f64_e32 v[0:1], v[18:19], v[6:7]
	s_delay_alu instid0(VALU_DEP_1) | instskip(SKIP_2) | instid1(VALU_DEP_2)
	v_fma_f64 v[161:162], v[16:17], v[4:5], -v[0:1]
	v_mul_f64_e32 v[0:1], v[16:17], v[6:7]
	v_add_f64_e64 v[16:17], v[47:48], -v[59:60]
	v_fma_f64 v[171:172], v[18:19], v[4:5], v[0:1]
	s_clause 0x1
	global_load_b128 v[0:3], v[24:25], off offset:6240
	global_load_b128 v[4:7], v[24:25], off offset:6256
	v_add_f64_e64 v[18:19], v[51:52], -v[55:56]
	s_wait_loadcnt 0x1
	v_mul_f64_e32 v[8:9], v[31:32], v[2:3]
	v_mul_f64_e32 v[2:3], v[29:30], v[2:3]
	s_delay_alu instid0(VALU_DEP_2) | instskip(NEXT) | instid1(VALU_DEP_2)
	v_fma_f64 v[173:174], v[29:30], v[0:1], -v[8:9]
	v_fma_f64 v[175:176], v[31:32], v[0:1], v[2:3]
	s_wait_loadcnt_dscnt 0x0
	v_mul_f64_e32 v[0:1], v[22:23], v[6:7]
	v_add_f64_e64 v[2:3], v[57:58], -v[53:54]
	v_add_f64_e64 v[28:29], v[49:50], -v[45:46]
	;; [unrolled: 1-line block ×3, first 2 shown]
	s_delay_alu instid0(VALU_DEP_4) | instskip(SKIP_2) | instid1(VALU_DEP_2)
	v_fma_f64 v[177:178], v[20:21], v[4:5], -v[0:1]
	v_mul_f64_e32 v[0:1], v[20:21], v[6:7]
	v_add_f64_e64 v[20:21], v[45:46], -v[57:58]
	v_fma_f64 v[179:180], v[22:23], v[4:5], v[0:1]
	v_add_f64_e64 v[0:1], v[45:46], -v[49:50]
	v_add_f64_e64 v[22:23], v[49:50], -v[53:54]
	s_delay_alu instid0(VALU_DEP_2) | instskip(SKIP_2) | instid1(VALU_DEP_1)
	v_add_f64_e32 v[4:5], v[0:1], v[2:3]
	v_add_f64_e64 v[0:1], v[47:48], -v[51:52]
	v_add_f64_e64 v[2:3], v[59:60], -v[55:56]
	v_add_f64_e32 v[6:7], v[0:1], v[2:3]
	v_add_f64_e32 v[0:1], v[49:50], v[53:54]
	s_delay_alu instid0(VALU_DEP_1) | instskip(SKIP_1) | instid1(VALU_DEP_1)
	v_fma_f64 v[8:9], v[0:1], -0.5, v[33:34]
	v_add_f64_e32 v[0:1], v[51:52], v[55:56]
	v_fma_f64 v[10:11], v[0:1], -0.5, v[35:36]
	s_delay_alu instid0(VALU_DEP_3) | instskip(SKIP_1) | instid1(VALU_DEP_3)
	v_fma_f64 v[0:1], v[16:17], s[12:13], v[8:9]
	v_fma_f64 v[8:9], v[16:17], s[14:15], v[8:9]
	;; [unrolled: 1-line block ×3, first 2 shown]
	s_delay_alu instid0(VALU_DEP_3) | instskip(SKIP_1) | instid1(VALU_DEP_3)
	v_fma_f64 v[0:1], v[18:19], s[4:5], v[0:1]
	s_wait_alu 0xfffe
	v_fma_f64 v[8:9], v[18:19], s[10:11], v[8:9]
	v_fma_f64 v[10:11], v[20:21], s[12:13], v[10:11]
	s_delay_alu instid0(VALU_DEP_4) | instskip(NEXT) | instid1(VALU_DEP_4)
	v_fma_f64 v[2:3], v[22:23], s[10:11], v[2:3]
	v_fma_f64 v[0:1], v[4:5], s[16:17], v[0:1]
	s_delay_alu instid0(VALU_DEP_4) | instskip(SKIP_3) | instid1(VALU_DEP_3)
	v_fma_f64 v[4:5], v[4:5], s[16:17], v[8:9]
	v_add_f64_e32 v[8:9], v[45:46], v[57:58]
	v_fma_f64 v[10:11], v[22:23], s[4:5], v[10:11]
	v_fma_f64 v[2:3], v[6:7], s[16:17], v[2:3]
	v_fma_f64 v[24:25], v[8:9], -0.5, v[33:34]
	v_add_f64_e32 v[8:9], v[47:48], v[59:60]
	s_delay_alu instid0(VALU_DEP_4) | instskip(SKIP_1) | instid1(VALU_DEP_3)
	v_fma_f64 v[6:7], v[6:7], s[16:17], v[10:11]
	v_add_f64_e32 v[10:11], v[35:36], v[47:48]
	v_fma_f64 v[26:27], v[8:9], -0.5, v[35:36]
	v_add_f64_e32 v[8:9], v[33:34], v[45:46]
	v_add_f64_e64 v[32:33], v[53:54], -v[57:58]
	v_add_f64_e64 v[34:35], v[55:56], -v[59:60]
	v_fma_f64 v[36:37], v[18:19], s[14:15], v[24:25]
	v_fma_f64 v[18:19], v[18:19], s[12:13], v[24:25]
	v_add_f64_e64 v[44:45], v[63:64], -v[76:77]
	v_add_f64_e32 v[10:11], v[10:11], v[51:52]
	v_add_f64_e64 v[46:47], v[68:69], -v[72:73]
	v_fma_f64 v[24:25], v[22:23], s[12:13], v[26:27]
	v_fma_f64 v[22:23], v[22:23], s[14:15], v[26:27]
	v_add_f64_e32 v[26:27], v[28:29], v[32:33]
	v_add_f64_e32 v[28:29], v[30:31], v[34:35]
	v_fma_f64 v[30:31], v[16:17], s[4:5], v[36:37]
	v_fma_f64 v[32:33], v[16:17], s[10:11], v[18:19]
	v_add_f64_e32 v[8:9], v[8:9], v[49:50]
	v_add_f64_e64 v[48:49], v[61:62], -v[74:75]
	v_add_f64_e64 v[50:51], v[65:66], -v[70:71]
	v_add_f64_e32 v[10:11], v[10:11], v[55:56]
	v_fma_f64 v[18:19], v[20:21], s[10:11], v[24:25]
	v_fma_f64 v[22:23], v[20:21], s[4:5], v[22:23]
	v_add_f64_e64 v[24:25], v[61:62], -v[65:66]
	v_fma_f64 v[16:17], v[26:27], s[16:17], v[30:31]
	v_fma_f64 v[20:21], v[26:27], s[16:17], v[32:33]
	v_add_f64_e64 v[26:27], v[74:75], -v[70:71]
	v_add_f64_e32 v[32:33], v[65:66], v[70:71]
	v_add_f64_e32 v[8:9], v[8:9], v[53:54]
	;; [unrolled: 1-line block ×3, first 2 shown]
	v_add_f64_e64 v[52:53], v[65:66], -v[61:62]
	v_add_f64_e64 v[54:55], v[68:69], -v[63:64]
	v_fma_f64 v[18:19], v[28:29], s[16:17], v[18:19]
	v_fma_f64 v[22:23], v[28:29], s[16:17], v[22:23]
	v_add_f64_e32 v[36:37], v[24:25], v[26:27]
	v_add_f64_e64 v[24:25], v[63:64], -v[68:69]
	v_add_f64_e64 v[26:27], v[76:77], -v[72:73]
	v_add_f64_e32 v[8:9], v[8:9], v[57:58]
	v_add_f64_e64 v[56:57], v[70:71], -v[74:75]
	v_add_f64_e64 v[58:59], v[72:73], -v[76:77]
	s_delay_alu instid0(VALU_DEP_4)
	v_add_f64_e32 v[38:39], v[24:25], v[26:27]
	ds_load_b128 v[24:27], v167
	ds_load_b128 v[28:31], v166
	s_wait_dscnt 0x1
	v_fma_f64 v[40:41], v[32:33], -0.5, v[24:25]
	v_add_f64_e32 v[32:33], v[68:69], v[72:73]
	s_delay_alu instid0(VALU_DEP_1) | instskip(NEXT) | instid1(VALU_DEP_3)
	v_fma_f64 v[42:43], v[32:33], -0.5, v[26:27]
	v_fma_f64 v[32:33], v[44:45], s[12:13], v[40:41]
	v_fma_f64 v[40:41], v[44:45], s[14:15], v[40:41]
	s_delay_alu instid0(VALU_DEP_3) | instskip(SKIP_1) | instid1(VALU_DEP_4)
	v_fma_f64 v[34:35], v[48:49], s[14:15], v[42:43]
	v_fma_f64 v[42:43], v[48:49], s[12:13], v[42:43]
	;; [unrolled: 1-line block ×3, first 2 shown]
	s_delay_alu instid0(VALU_DEP_4) | instskip(NEXT) | instid1(VALU_DEP_4)
	v_fma_f64 v[40:41], v[46:47], s[10:11], v[40:41]
	v_fma_f64 v[34:35], v[50:51], s[10:11], v[34:35]
	s_delay_alu instid0(VALU_DEP_4) | instskip(NEXT) | instid1(VALU_DEP_4)
	v_fma_f64 v[42:43], v[50:51], s[4:5], v[42:43]
	v_fma_f64 v[32:33], v[36:37], s[16:17], v[32:33]
	s_delay_alu instid0(VALU_DEP_4) | instskip(SKIP_4) | instid1(VALU_DEP_4)
	v_fma_f64 v[36:37], v[36:37], s[16:17], v[40:41]
	v_add_f64_e32 v[40:41], v[61:62], v[74:75]
	v_fma_f64 v[34:35], v[38:39], s[16:17], v[34:35]
	v_fma_f64 v[38:39], v[38:39], s[16:17], v[42:43]
	v_add_f64_e32 v[42:43], v[63:64], v[76:77]
	v_fma_f64 v[40:41], v[40:41], -0.5, v[24:25]
	v_add_f64_e32 v[24:25], v[24:25], v[61:62]
	s_delay_alu instid0(VALU_DEP_3) | instskip(SKIP_1) | instid1(VALU_DEP_4)
	v_fma_f64 v[42:43], v[42:43], -0.5, v[26:27]
	v_add_f64_e32 v[26:27], v[26:27], v[63:64]
	v_fma_f64 v[60:61], v[46:47], s[14:15], v[40:41]
	v_fma_f64 v[40:41], v[46:47], s[12:13], v[40:41]
	v_add_f64_e32 v[24:25], v[24:25], v[65:66]
	v_add_f64_e64 v[64:65], v[78:79], -v[90:91]
	v_add_f64_e64 v[62:63], v[84:85], -v[88:89]
	v_fma_f64 v[46:47], v[50:51], s[12:13], v[42:43]
	v_fma_f64 v[42:43], v[50:51], s[14:15], v[42:43]
	v_add_f64_e32 v[50:51], v[52:53], v[56:57]
	v_add_f64_e32 v[52:53], v[54:55], v[58:59]
	v_fma_f64 v[54:55], v[44:45], s[4:5], v[60:61]
	v_fma_f64 v[44:45], v[44:45], s[10:11], v[40:41]
	v_add_f64_e64 v[60:61], v[80:81], -v[92:93]
	v_add_f64_e32 v[26:27], v[26:27], v[68:69]
	v_add_f64_e64 v[68:69], v[82:83], -v[86:87]
	v_add_f64_e32 v[24:25], v[24:25], v[70:71]
	v_add_f64_e64 v[70:71], v[82:83], -v[78:79]
	v_fma_f64 v[46:47], v[48:49], s[10:11], v[46:47]
	v_fma_f64 v[48:49], v[48:49], s[4:5], v[42:43]
	;; [unrolled: 1-line block ×4, first 2 shown]
	v_add_f64_e64 v[50:51], v[90:91], -v[86:87]
	v_add_f64_e32 v[26:27], v[26:27], v[72:73]
	v_add_f64_e64 v[72:73], v[84:85], -v[80:81]
	v_add_f64_e32 v[24:25], v[24:25], v[74:75]
	v_add_f64_e64 v[74:75], v[86:87], -v[90:91]
	v_fma_f64 v[42:43], v[52:53], s[16:17], v[46:47]
	v_fma_f64 v[46:47], v[52:53], s[16:17], v[48:49]
	v_add_f64_e64 v[48:49], v[78:79], -v[82:83]
	v_add_f64_e32 v[26:27], v[26:27], v[76:77]
	v_add_f64_e64 v[76:77], v[88:89], -v[92:93]
	s_delay_alu instid0(VALU_DEP_3) | instskip(SKIP_2) | instid1(VALU_DEP_1)
	v_add_f64_e32 v[52:53], v[48:49], v[50:51]
	v_add_f64_e64 v[48:49], v[80:81], -v[84:85]
	v_add_f64_e64 v[50:51], v[92:93], -v[88:89]
	v_add_f64_e32 v[54:55], v[48:49], v[50:51]
	v_add_f64_e32 v[48:49], v[82:83], v[86:87]
	s_wait_dscnt 0x0
	s_delay_alu instid0(VALU_DEP_1) | instskip(SKIP_1) | instid1(VALU_DEP_1)
	v_fma_f64 v[56:57], v[48:49], -0.5, v[28:29]
	v_add_f64_e32 v[48:49], v[84:85], v[88:89]
	v_fma_f64 v[58:59], v[48:49], -0.5, v[30:31]
	s_delay_alu instid0(VALU_DEP_3) | instskip(SKIP_1) | instid1(VALU_DEP_3)
	v_fma_f64 v[48:49], v[60:61], s[12:13], v[56:57]
	v_fma_f64 v[56:57], v[60:61], s[14:15], v[56:57]
	;; [unrolled: 1-line block ×4, first 2 shown]
	s_delay_alu instid0(VALU_DEP_4) | instskip(NEXT) | instid1(VALU_DEP_4)
	v_fma_f64 v[48:49], v[62:63], s[4:5], v[48:49]
	v_fma_f64 v[56:57], v[62:63], s[10:11], v[56:57]
	s_delay_alu instid0(VALU_DEP_4) | instskip(NEXT) | instid1(VALU_DEP_4)
	v_fma_f64 v[50:51], v[68:69], s[10:11], v[50:51]
	v_fma_f64 v[58:59], v[68:69], s[4:5], v[58:59]
	;; [unrolled: 3-line block ×3, first 2 shown]
	v_add_f64_e32 v[56:57], v[78:79], v[90:91]
	v_fma_f64 v[50:51], v[54:55], s[16:17], v[50:51]
	v_fma_f64 v[54:55], v[54:55], s[16:17], v[58:59]
	v_add_f64_e32 v[58:59], v[80:81], v[92:93]
	s_delay_alu instid0(VALU_DEP_4) | instskip(SKIP_1) | instid1(VALU_DEP_3)
	v_fma_f64 v[56:57], v[56:57], -0.5, v[28:29]
	v_add_f64_e32 v[28:29], v[28:29], v[78:79]
	v_fma_f64 v[58:59], v[58:59], -0.5, v[30:31]
	v_add_f64_e32 v[30:31], v[30:31], v[80:81]
	s_delay_alu instid0(VALU_DEP_4)
	v_fma_f64 v[78:79], v[62:63], s[14:15], v[56:57]
	v_fma_f64 v[56:57], v[62:63], s[12:13], v[56:57]
	v_add_f64_e32 v[28:29], v[28:29], v[82:83]
	v_fma_f64 v[62:63], v[68:69], s[12:13], v[58:59]
	v_fma_f64 v[58:59], v[68:69], s[14:15], v[58:59]
	v_add_f64_e32 v[68:69], v[70:71], v[74:75]
	v_add_f64_e32 v[70:71], v[72:73], v[76:77]
	v_fma_f64 v[72:73], v[60:61], s[4:5], v[78:79]
	v_fma_f64 v[60:61], v[60:61], s[10:11], v[56:57]
	v_add_f64_e32 v[76:77], v[98:99], v[102:103]
	v_add_f64_e32 v[30:31], v[30:31], v[84:85]
	;; [unrolled: 1-line block ×3, first 2 shown]
	v_add_f64_e64 v[86:87], v[96:97], -v[108:109]
	v_fma_f64 v[62:63], v[64:65], s[10:11], v[62:63]
	v_fma_f64 v[64:65], v[64:65], s[4:5], v[58:59]
	;; [unrolled: 1-line block ×4, first 2 shown]
	v_add_f64_e64 v[68:69], v[106:107], -v[102:103]
	v_add_f64_e32 v[30:31], v[30:31], v[88:89]
	v_add_f64_e32 v[28:29], v[28:29], v[90:91]
	v_add_f64_e64 v[88:89], v[100:101], -v[104:105]
	v_add_f64_e64 v[90:91], v[94:95], -v[106:107]
	v_fma_f64 v[58:59], v[70:71], s[16:17], v[62:63]
	v_fma_f64 v[62:63], v[70:71], s[16:17], v[64:65]
	v_add_f64_e64 v[64:65], v[94:95], -v[98:99]
	v_add_f64_e64 v[70:71], v[108:109], -v[104:105]
	v_add_f64_e32 v[30:31], v[30:31], v[92:93]
	v_add_f64_e64 v[92:93], v[98:99], -v[102:103]
	s_delay_alu instid0(VALU_DEP_4) | instskip(SKIP_1) | instid1(VALU_DEP_1)
	v_add_f64_e32 v[64:65], v[64:65], v[68:69]
	v_add_f64_e64 v[68:69], v[96:97], -v[100:101]
	v_add_f64_e32 v[82:83], v[68:69], v[70:71]
	ds_load_b128 v[68:71], v165
	ds_load_b128 v[72:75], v164
	s_wait_dscnt 0x1
	v_fma_f64 v[80:81], v[76:77], -0.5, v[68:69]
	v_add_f64_e32 v[76:77], v[100:101], v[104:105]
	s_delay_alu instid0(VALU_DEP_1) | instskip(NEXT) | instid1(VALU_DEP_3)
	v_fma_f64 v[84:85], v[76:77], -0.5, v[70:71]
	v_fma_f64 v[76:77], v[86:87], s[12:13], v[80:81]
	v_fma_f64 v[80:81], v[86:87], s[14:15], v[80:81]
	s_delay_alu instid0(VALU_DEP_3) | instskip(NEXT) | instid1(VALU_DEP_3)
	v_fma_f64 v[78:79], v[90:91], s[14:15], v[84:85]
	v_fma_f64 v[76:77], v[88:89], s[4:5], v[76:77]
	;; [unrolled: 1-line block ×3, first 2 shown]
	s_delay_alu instid0(VALU_DEP_4) | instskip(NEXT) | instid1(VALU_DEP_4)
	v_fma_f64 v[80:81], v[88:89], s[10:11], v[80:81]
	v_fma_f64 v[78:79], v[92:93], s[10:11], v[78:79]
	s_delay_alu instid0(VALU_DEP_4) | instskip(NEXT) | instid1(VALU_DEP_4)
	v_fma_f64 v[76:77], v[64:65], s[16:17], v[76:77]
	v_fma_f64 v[84:85], v[92:93], s[4:5], v[84:85]
	s_delay_alu instid0(VALU_DEP_4) | instskip(SKIP_2) | instid1(VALU_DEP_4)
	v_fma_f64 v[80:81], v[64:65], s[16:17], v[80:81]
	v_add_f64_e32 v[64:65], v[94:95], v[106:107]
	v_fma_f64 v[78:79], v[82:83], s[16:17], v[78:79]
	v_fma_f64 v[82:83], v[82:83], s[16:17], v[84:85]
	v_add_f64_e32 v[84:85], v[96:97], v[108:109]
	s_delay_alu instid0(VALU_DEP_4) | instskip(SKIP_2) | instid1(VALU_DEP_4)
	v_fma_f64 v[64:65], v[64:65], -0.5, v[68:69]
	v_add_f64_e32 v[68:69], v[68:69], v[94:95]
	v_add_f64_e64 v[94:95], v[98:99], -v[94:95]
	v_fma_f64 v[84:85], v[84:85], -0.5, v[70:71]
	v_add_f64_e32 v[70:71], v[70:71], v[96:97]
	s_delay_alu instid0(VALU_DEP_4) | instskip(SKIP_2) | instid1(VALU_DEP_4)
	v_add_f64_e32 v[68:69], v[68:69], v[98:99]
	v_add_f64_e64 v[96:97], v[100:101], -v[96:97]
	v_add_f64_e64 v[98:99], v[102:103], -v[106:107]
	v_add_f64_e32 v[70:71], v[70:71], v[100:101]
	s_delay_alu instid0(VALU_DEP_4)
	v_add_f64_e32 v[68:69], v[68:69], v[102:103]
	v_add_f64_e64 v[100:101], v[104:105], -v[108:109]
	v_fma_f64 v[102:103], v[88:89], s[14:15], v[64:65]
	v_fma_f64 v[64:65], v[88:89], s[12:13], v[64:65]
	;; [unrolled: 1-line block ×4, first 2 shown]
	v_add_f64_e32 v[92:93], v[94:95], v[98:99]
	v_add_f64_e32 v[70:71], v[70:71], v[104:105]
	;; [unrolled: 1-line block ×4, first 2 shown]
	v_fma_f64 v[96:97], v[86:87], s[4:5], v[102:103]
	v_fma_f64 v[64:65], v[86:87], s[10:11], v[64:65]
	;; [unrolled: 1-line block ×4, first 2 shown]
	v_add_f64_e64 v[102:103], v[112:113], -v[124:125]
	v_add_f64_e64 v[104:105], v[116:117], -v[120:121]
	;; [unrolled: 1-line block ×3, first 2 shown]
	v_add_f64_e32 v[70:71], v[70:71], v[108:109]
	v_add_f64_e64 v[108:109], v[114:115], -v[118:119]
	v_fma_f64 v[84:85], v[92:93], s[16:17], v[96:97]
	v_fma_f64 v[88:89], v[92:93], s[16:17], v[64:65]
	v_add_f64_e64 v[64:65], v[110:111], -v[114:115]
	v_add_f64_e64 v[92:93], v[122:123], -v[118:119]
	v_fma_f64 v[86:87], v[94:95], s[16:17], v[86:87]
	v_fma_f64 v[90:91], v[94:95], s[16:17], v[90:91]
	v_add_f64_e64 v[94:95], v[124:125], -v[120:121]
	s_delay_alu instid0(VALU_DEP_4) | instskip(SKIP_1) | instid1(VALU_DEP_1)
	v_add_f64_e32 v[64:65], v[64:65], v[92:93]
	v_add_f64_e64 v[92:93], v[112:113], -v[116:117]
	v_add_f64_e32 v[98:99], v[92:93], v[94:95]
	v_add_f64_e32 v[92:93], v[114:115], v[118:119]
	s_wait_dscnt 0x0
	s_delay_alu instid0(VALU_DEP_1) | instskip(SKIP_1) | instid1(VALU_DEP_1)
	v_fma_f64 v[96:97], v[92:93], -0.5, v[72:73]
	v_add_f64_e32 v[92:93], v[116:117], v[120:121]
	v_fma_f64 v[100:101], v[92:93], -0.5, v[74:75]
	s_delay_alu instid0(VALU_DEP_3) | instskip(SKIP_1) | instid1(VALU_DEP_3)
	v_fma_f64 v[92:93], v[102:103], s[12:13], v[96:97]
	v_fma_f64 v[96:97], v[102:103], s[14:15], v[96:97]
	;; [unrolled: 1-line block ×3, first 2 shown]
	s_delay_alu instid0(VALU_DEP_3) | instskip(SKIP_1) | instid1(VALU_DEP_4)
	v_fma_f64 v[92:93], v[104:105], s[4:5], v[92:93]
	v_fma_f64 v[100:101], v[106:107], s[12:13], v[100:101]
	;; [unrolled: 1-line block ×3, first 2 shown]
	s_delay_alu instid0(VALU_DEP_4) | instskip(NEXT) | instid1(VALU_DEP_4)
	v_fma_f64 v[94:95], v[108:109], s[10:11], v[94:95]
	v_fma_f64 v[92:93], v[64:65], s[16:17], v[92:93]
	s_delay_alu instid0(VALU_DEP_4) | instskip(NEXT) | instid1(VALU_DEP_4)
	v_fma_f64 v[100:101], v[108:109], s[4:5], v[100:101]
	v_fma_f64 v[96:97], v[64:65], s[16:17], v[96:97]
	v_add_f64_e32 v[64:65], v[110:111], v[122:123]
	v_fma_f64 v[94:95], v[98:99], s[16:17], v[94:95]
	s_delay_alu instid0(VALU_DEP_4) | instskip(SKIP_1) | instid1(VALU_DEP_4)
	v_fma_f64 v[98:99], v[98:99], s[16:17], v[100:101]
	v_add_f64_e32 v[100:101], v[112:113], v[124:125]
	v_fma_f64 v[64:65], v[64:65], -0.5, v[72:73]
	v_add_f64_e32 v[72:73], v[72:73], v[110:111]
	v_add_f64_e64 v[110:111], v[114:115], -v[110:111]
	s_delay_alu instid0(VALU_DEP_4) | instskip(SKIP_1) | instid1(VALU_DEP_4)
	v_fma_f64 v[100:101], v[100:101], -0.5, v[74:75]
	v_add_f64_e32 v[74:75], v[74:75], v[112:113]
	v_add_f64_e32 v[72:73], v[72:73], v[114:115]
	v_add_f64_e64 v[112:113], v[116:117], -v[112:113]
	v_add_f64_e64 v[114:115], v[118:119], -v[122:123]
	s_delay_alu instid0(VALU_DEP_4) | instskip(NEXT) | instid1(VALU_DEP_4)
	v_add_f64_e32 v[74:75], v[74:75], v[116:117]
	v_add_f64_e32 v[72:73], v[72:73], v[118:119]
	v_add_f64_e64 v[116:117], v[120:121], -v[124:125]
	v_fma_f64 v[118:119], v[104:105], s[14:15], v[64:65]
	v_fma_f64 v[64:65], v[104:105], s[12:13], v[64:65]
	;; [unrolled: 1-line block ×4, first 2 shown]
	v_add_f64_e32 v[108:109], v[110:111], v[114:115]
	v_add_f64_e32 v[74:75], v[74:75], v[120:121]
	;; [unrolled: 1-line block ×4, first 2 shown]
	v_fma_f64 v[112:113], v[102:103], s[4:5], v[118:119]
	v_fma_f64 v[64:65], v[102:103], s[10:11], v[64:65]
	;; [unrolled: 1-line block ×4, first 2 shown]
	v_add_f64_e64 v[122:123], v[128:129], -v[140:141]
	v_add_f64_e32 v[74:75], v[74:75], v[124:125]
	v_add_f64_e64 v[124:125], v[132:133], -v[136:137]
	v_fma_f64 v[100:101], v[108:109], s[16:17], v[112:113]
	v_fma_f64 v[104:105], v[108:109], s[16:17], v[64:65]
	v_add_f64_e64 v[64:65], v[126:127], -v[130:131]
	v_add_f64_e64 v[108:109], v[138:139], -v[134:135]
	v_fma_f64 v[102:103], v[110:111], s[16:17], v[102:103]
	v_fma_f64 v[106:107], v[110:111], s[16:17], v[106:107]
	v_add_f64_e64 v[110:111], v[140:141], -v[136:137]
	v_add_f64_e32 v[112:113], v[130:131], v[134:135]
	v_add_f64_e32 v[64:65], v[64:65], v[108:109]
	v_add_f64_e64 v[108:109], v[128:129], -v[132:133]
	s_delay_alu instid0(VALU_DEP_1)
	v_add_f64_e32 v[118:119], v[108:109], v[110:111]
	ds_load_b128 v[108:111], v67
	global_wb scope:SCOPE_SE
	s_wait_dscnt 0x0
	s_barrier_signal -1
	s_barrier_wait -1
	global_inv scope:SCOPE_SE
	v_fma_f64 v[116:117], v[112:113], -0.5, v[108:109]
	v_add_f64_e32 v[112:113], v[132:133], v[136:137]
	s_delay_alu instid0(VALU_DEP_1) | instskip(NEXT) | instid1(VALU_DEP_3)
	v_fma_f64 v[120:121], v[112:113], -0.5, v[110:111]
	v_fma_f64 v[112:113], v[122:123], s[12:13], v[116:117]
	v_fma_f64 v[116:117], v[122:123], s[14:15], v[116:117]
	s_delay_alu instid0(VALU_DEP_3) | instskip(NEXT) | instid1(VALU_DEP_3)
	v_fma_f64 v[114:115], v[181:182], s[14:15], v[120:121]
	v_fma_f64 v[112:113], v[124:125], s[4:5], v[112:113]
	;; [unrolled: 1-line block ×3, first 2 shown]
	s_delay_alu instid0(VALU_DEP_4) | instskip(NEXT) | instid1(VALU_DEP_4)
	v_fma_f64 v[116:117], v[124:125], s[10:11], v[116:117]
	v_fma_f64 v[114:115], v[183:184], s[10:11], v[114:115]
	s_delay_alu instid0(VALU_DEP_4) | instskip(NEXT) | instid1(VALU_DEP_4)
	v_fma_f64 v[112:113], v[64:65], s[16:17], v[112:113]
	v_fma_f64 v[120:121], v[183:184], s[4:5], v[120:121]
	s_delay_alu instid0(VALU_DEP_4) | instskip(SKIP_2) | instid1(VALU_DEP_4)
	v_fma_f64 v[116:117], v[64:65], s[16:17], v[116:117]
	v_add_f64_e32 v[64:65], v[126:127], v[138:139]
	v_fma_f64 v[114:115], v[118:119], s[16:17], v[114:115]
	v_fma_f64 v[118:119], v[118:119], s[16:17], v[120:121]
	v_add_f64_e32 v[120:121], v[128:129], v[140:141]
	s_delay_alu instid0(VALU_DEP_4) | instskip(SKIP_2) | instid1(VALU_DEP_4)
	v_fma_f64 v[64:65], v[64:65], -0.5, v[108:109]
	v_add_f64_e32 v[108:109], v[108:109], v[126:127]
	v_add_f64_e64 v[126:127], v[130:131], -v[126:127]
	v_fma_f64 v[120:121], v[120:121], -0.5, v[110:111]
	v_add_f64_e32 v[110:111], v[110:111], v[128:129]
	s_delay_alu instid0(VALU_DEP_4) | instskip(SKIP_2) | instid1(VALU_DEP_4)
	v_add_f64_e32 v[108:109], v[108:109], v[130:131]
	v_add_f64_e64 v[128:129], v[132:133], -v[128:129]
	v_add_f64_e64 v[130:131], v[134:135], -v[138:139]
	v_add_f64_e32 v[110:111], v[110:111], v[132:133]
	s_delay_alu instid0(VALU_DEP_4)
	v_add_f64_e32 v[108:109], v[108:109], v[134:135]
	v_add_f64_e64 v[132:133], v[136:137], -v[140:141]
	v_fma_f64 v[134:135], v[124:125], s[14:15], v[64:65]
	v_fma_f64 v[64:65], v[124:125], s[12:13], v[64:65]
	v_fma_f64 v[124:125], v[183:184], s[12:13], v[120:121]
	v_fma_f64 v[120:121], v[183:184], s[14:15], v[120:121]
	v_add_f64_e32 v[126:127], v[126:127], v[130:131]
	v_add_f64_e64 v[183:184], v[161:162], -v[173:174]
	v_add_f64_e32 v[110:111], v[110:111], v[136:137]
	v_add_f64_e32 v[108:109], v[108:109], v[138:139]
	;; [unrolled: 1-line block ×3, first 2 shown]
	v_fma_f64 v[130:131], v[122:123], s[4:5], v[134:135]
	v_fma_f64 v[64:65], v[122:123], s[10:11], v[64:65]
	;; [unrolled: 1-line block ×4, first 2 shown]
	v_add_f64_e64 v[138:139], v[159:160], -v[179:180]
	v_add_f64_e64 v[181:182], v[142:143], -v[177:178]
	v_add_f64_e32 v[110:111], v[110:111], v[140:141]
	v_add_f64_e64 v[140:141], v[171:172], -v[175:176]
	v_fma_f64 v[120:121], v[126:127], s[16:17], v[130:131]
	v_fma_f64 v[124:125], v[126:127], s[16:17], v[64:65]
	;; [unrolled: 1-line block ×4, first 2 shown]
	v_add_f64_e64 v[64:65], v[142:143], -v[161:162]
	v_add_f64_e64 v[128:129], v[177:178], -v[173:174]
	;; [unrolled: 1-line block ×3, first 2 shown]
	s_delay_alu instid0(VALU_DEP_2) | instskip(SKIP_1) | instid1(VALU_DEP_1)
	v_add_f64_e32 v[64:65], v[64:65], v[128:129]
	v_add_f64_e64 v[128:129], v[159:160], -v[171:172]
	v_add_f64_e32 v[134:135], v[128:129], v[130:131]
	v_add_f64_e32 v[128:129], v[161:162], v[173:174]
	s_delay_alu instid0(VALU_DEP_1) | instskip(SKIP_1) | instid1(VALU_DEP_1)
	v_fma_f64 v[132:133], v[128:129], -0.5, v[12:13]
	v_add_f64_e32 v[128:129], v[171:172], v[175:176]
	v_fma_f64 v[136:137], v[128:129], -0.5, v[14:15]
	s_delay_alu instid0(VALU_DEP_3) | instskip(SKIP_1) | instid1(VALU_DEP_3)
	v_fma_f64 v[128:129], v[138:139], s[12:13], v[132:133]
	v_fma_f64 v[132:133], v[138:139], s[14:15], v[132:133]
	;; [unrolled: 1-line block ×4, first 2 shown]
	s_delay_alu instid0(VALU_DEP_4) | instskip(NEXT) | instid1(VALU_DEP_4)
	v_fma_f64 v[128:129], v[140:141], s[4:5], v[128:129]
	v_fma_f64 v[132:133], v[140:141], s[10:11], v[132:133]
	s_delay_alu instid0(VALU_DEP_4) | instskip(NEXT) | instid1(VALU_DEP_4)
	v_fma_f64 v[130:131], v[183:184], s[10:11], v[130:131]
	v_fma_f64 v[136:137], v[183:184], s[4:5], v[136:137]
	;; [unrolled: 3-line block ×3, first 2 shown]
	v_add_f64_e32 v[64:65], v[142:143], v[177:178]
	v_fma_f64 v[130:131], v[134:135], s[16:17], v[130:131]
	v_fma_f64 v[134:135], v[134:135], s[16:17], v[136:137]
	v_add_f64_e32 v[136:137], v[159:160], v[179:180]
	s_delay_alu instid0(VALU_DEP_4) | instskip(SKIP_2) | instid1(VALU_DEP_4)
	v_fma_f64 v[64:65], v[64:65], -0.5, v[12:13]
	v_add_f64_e32 v[12:13], v[12:13], v[142:143]
	v_add_f64_e64 v[142:143], v[161:162], -v[142:143]
	v_fma_f64 v[136:137], v[136:137], -0.5, v[14:15]
	v_add_f64_e32 v[14:15], v[14:15], v[159:160]
	v_add_f64_e64 v[159:160], v[171:172], -v[159:160]
	v_add_f64_e32 v[12:13], v[12:13], v[161:162]
	v_fma_f64 v[161:162], v[140:141], s[14:15], v[64:65]
	v_fma_f64 v[64:65], v[140:141], s[12:13], v[64:65]
	v_add_f64_e64 v[140:141], v[173:174], -v[177:178]
	v_add_f64_e32 v[14:15], v[14:15], v[171:172]
	v_add_f64_e64 v[171:172], v[175:176], -v[179:180]
	v_add_f64_e32 v[12:13], v[12:13], v[173:174]
	v_fma_f64 v[173:174], v[183:184], s[12:13], v[136:137]
	v_fma_f64 v[136:137], v[183:184], s[14:15], v[136:137]
	v_add_f64_e32 v[140:141], v[142:143], v[140:141]
	v_fma_f64 v[142:143], v[138:139], s[4:5], v[161:162]
	v_fma_f64 v[64:65], v[138:139], s[10:11], v[64:65]
	v_add_f64_e32 v[14:15], v[14:15], v[175:176]
	v_add_f64_e32 v[159:160], v[159:160], v[171:172]
	v_add_f64_e32 v[12:13], v[12:13], v[177:178]
	v_fma_f64 v[138:139], v[181:182], s[10:11], v[173:174]
	v_fma_f64 v[161:162], v[181:182], s[4:5], v[136:137]
	s_mov_b32 s4, exec_lo
	v_fma_f64 v[136:137], v[140:141], s[16:17], v[142:143]
	v_fma_f64 v[140:141], v[140:141], s[16:17], v[64:65]
	v_add_f64_e32 v[14:15], v[14:15], v[179:180]
	v_fma_f64 v[138:139], v[159:160], s[16:17], v[138:139]
	v_fma_f64 v[142:143], v[159:160], s[16:17], v[161:162]
	ds_store_b128 v163, v[8:11]
	ds_store_b128 v163, v[0:3] offset:6272
	ds_store_b128 v163, v[16:19] offset:12544
	ds_store_b128 v163, v[20:23] offset:18816
	ds_store_b128 v163, v[4:7] offset:25088
	ds_store_b128 v167, v[24:27]
	ds_store_b128 v167, v[32:35] offset:6272
	ds_store_b128 v167, v[40:43] offset:12544
	ds_store_b128 v167, v[44:47] offset:18816
	ds_store_b128 v167, v[36:39] offset:25088
	;; [unrolled: 5-line block ×7, first 2 shown]
	global_wb scope:SCOPE_SE
	s_wait_dscnt 0x0
	s_barrier_signal -1
	s_barrier_wait -1
	global_inv scope:SCOPE_SE
	ds_load_b128 v[4:7], v163
	v_lshlrev_b32_e32 v0, 4, v144
                                        ; implicit-def: $vgpr10_vgpr11
                                        ; implicit-def: $vgpr8_vgpr9
                                        ; implicit-def: $vgpr2_vgpr3
	s_delay_alu instid0(VALU_DEP_1)
	v_sub_nc_u32_e32 v12, 0, v0
	v_cmpx_ne_u32_e32 0, v144
	s_wait_alu 0xfffe
	s_xor_b32 s4, exec_lo, s4
	s_cbranch_execz .LBB0_21
; %bb.20:
	v_mov_b32_e32 v145, 0
	s_delay_alu instid0(VALU_DEP_1) | instskip(NEXT) | instid1(VALU_DEP_1)
	v_lshlrev_b64_e32 v[0:1], 4, v[144:145]
	v_add_co_u32 v0, s1, s8, v0
	s_wait_alu 0xf1ff
	s_delay_alu instid0(VALU_DEP_2)
	v_add_co_ci_u32_e64 v1, s1, s9, v1, s1
	global_load_b128 v[8:11], v[0:1], off offset:31296
	ds_load_b128 v[0:3], v12 offset:31360
	s_wait_dscnt 0x0
	v_add_f64_e64 v[13:14], v[4:5], -v[0:1]
	v_add_f64_e32 v[15:16], v[6:7], v[2:3]
	v_add_f64_e64 v[2:3], v[6:7], -v[2:3]
	v_add_f64_e32 v[0:1], v[4:5], v[0:1]
	s_delay_alu instid0(VALU_DEP_4) | instskip(NEXT) | instid1(VALU_DEP_4)
	v_mul_f64_e32 v[6:7], 0.5, v[13:14]
	v_mul_f64_e32 v[4:5], 0.5, v[15:16]
	s_delay_alu instid0(VALU_DEP_4) | instskip(SKIP_1) | instid1(VALU_DEP_3)
	v_mul_f64_e32 v[2:3], 0.5, v[2:3]
	s_wait_loadcnt 0x0
	v_mul_f64_e32 v[13:14], v[6:7], v[10:11]
	s_delay_alu instid0(VALU_DEP_2) | instskip(SKIP_1) | instid1(VALU_DEP_3)
	v_fma_f64 v[15:16], v[4:5], v[10:11], v[2:3]
	v_fma_f64 v[2:3], v[4:5], v[10:11], -v[2:3]
	v_fma_f64 v[17:18], v[0:1], 0.5, v[13:14]
	v_fma_f64 v[0:1], v[0:1], 0.5, -v[13:14]
	s_delay_alu instid0(VALU_DEP_4) | instskip(NEXT) | instid1(VALU_DEP_4)
	v_fma_f64 v[10:11], -v[8:9], v[6:7], v[15:16]
	v_fma_f64 v[2:3], -v[8:9], v[6:7], v[2:3]
	s_delay_alu instid0(VALU_DEP_4) | instskip(NEXT) | instid1(VALU_DEP_4)
	v_fma_f64 v[13:14], v[4:5], v[8:9], v[17:18]
	v_fma_f64 v[0:1], -v[4:5], v[8:9], v[0:1]
	v_dual_mov_b32 v8, v144 :: v_dual_mov_b32 v9, v145
                                        ; implicit-def: $vgpr4_vgpr5
	ds_store_b64 v163, v[13:14]
.LBB0_21:
	s_wait_alu 0xfffe
	s_and_not1_saveexec_b32 s1, s4
	s_cbranch_execz .LBB0_23
; %bb.22:
	s_wait_dscnt 0x0
	v_add_f64_e32 v[13:14], v[4:5], v[6:7]
	v_add_f64_e64 v[0:1], v[4:5], -v[6:7]
	v_mov_b32_e32 v6, 0
	v_mov_b32_e32 v10, 0
	v_dual_mov_b32 v11, 0 :: v_dual_mov_b32 v8, 0
	s_delay_alu instid0(VALU_DEP_2)
	v_mov_b32_e32 v2, v10
	ds_load_b64 v[4:5], v6 offset:15688
	v_mov_b32_e32 v9, 0
	v_mov_b32_e32 v3, v11
	s_wait_dscnt 0x0
	v_xor_b32_e32 v5, 0x80000000, v5
	ds_store_b64 v163, v[13:14]
	ds_store_b64 v6, v[4:5] offset:15688
.LBB0_23:
	s_wait_alu 0xfffe
	s_or_b32 exec_lo, exec_lo, s1
	v_mov_b32_e32 v152, 0
	s_add_nc_u64 s[4:5], s[8:9], 0x7a40
	s_wait_dscnt 0x0
	s_delay_alu instid0(VALU_DEP_1) | instskip(SKIP_2) | instid1(VALU_DEP_2)
	v_lshlrev_b64_e32 v[4:5], 4, v[151:152]
	v_mov_b32_e32 v159, v152
	v_mov_b32_e32 v151, v152
	v_lshlrev_b64_e32 v[13:14], 4, v[158:159]
	v_mov_b32_e32 v158, v152
	v_add_co_u32 v4, s1, s8, v4
	s_wait_alu 0xf1ff
	v_add_co_ci_u32_e64 v5, s1, s9, v5, s1
	s_delay_alu instid0(VALU_DEP_4)
	v_add_co_u32 v13, s1, s8, v13
	s_wait_alu 0xf1ff
	v_add_co_ci_u32_e64 v14, s1, s9, v14, s1
	s_clause 0x1
	global_load_b128 v[4:7], v[4:5], off offset:31296
	global_load_b128 v[13:16], v[13:14], off offset:31296
	ds_store_b64 v163, v[10:11] offset:8
	ds_store_b128 v12, v[0:3] offset:31360
	ds_load_b128 v[0:3], v167
	ds_load_b128 v[17:20], v12 offset:30464
	s_wait_dscnt 0x0
	v_add_f64_e64 v[10:11], v[0:1], -v[17:18]
	v_add_f64_e32 v[21:22], v[2:3], v[19:20]
	v_add_f64_e64 v[2:3], v[2:3], -v[19:20]
	v_add_f64_e32 v[0:1], v[0:1], v[17:18]
	s_delay_alu instid0(VALU_DEP_4) | instskip(NEXT) | instid1(VALU_DEP_4)
	v_mul_f64_e32 v[10:11], 0.5, v[10:11]
	v_mul_f64_e32 v[19:20], 0.5, v[21:22]
	s_delay_alu instid0(VALU_DEP_4) | instskip(SKIP_1) | instid1(VALU_DEP_3)
	v_mul_f64_e32 v[2:3], 0.5, v[2:3]
	s_wait_loadcnt 0x1
	v_mul_f64_e32 v[17:18], v[10:11], v[6:7]
	s_delay_alu instid0(VALU_DEP_2) | instskip(SKIP_1) | instid1(VALU_DEP_3)
	v_fma_f64 v[21:22], v[19:20], v[6:7], v[2:3]
	v_fma_f64 v[6:7], v[19:20], v[6:7], -v[2:3]
	v_fma_f64 v[23:24], v[0:1], 0.5, v[17:18]
	v_fma_f64 v[17:18], v[0:1], 0.5, -v[17:18]
	s_delay_alu instid0(VALU_DEP_4) | instskip(NEXT) | instid1(VALU_DEP_4)
	v_fma_f64 v[2:3], -v[4:5], v[10:11], v[21:22]
	v_fma_f64 v[6:7], -v[4:5], v[10:11], v[6:7]
	v_lshlrev_b64_e32 v[10:11], 4, v[157:158]
	v_mov_b32_e32 v157, v152
	s_delay_alu instid0(VALU_DEP_2) | instskip(SKIP_1) | instid1(VALU_DEP_3)
	v_add_co_u32 v10, s1, s8, v10
	s_wait_alu 0xf1ff
	v_add_co_ci_u32_e64 v11, s1, s9, v11, s1
	v_fma_f64 v[0:1], v[19:20], v[4:5], v[23:24]
	v_fma_f64 v[4:5], -v[19:20], v[4:5], v[17:18]
	global_load_b128 v[17:20], v[10:11], off offset:31296
	ds_store_b128 v167, v[0:3]
	ds_store_b128 v12, v[4:7] offset:30464
	ds_load_b128 v[0:3], v166
	ds_load_b128 v[4:7], v12 offset:29568
	s_wait_dscnt 0x0
	v_add_f64_e64 v[10:11], v[0:1], -v[4:5]
	v_add_f64_e32 v[21:22], v[2:3], v[6:7]
	v_add_f64_e64 v[2:3], v[2:3], -v[6:7]
	v_add_f64_e32 v[0:1], v[0:1], v[4:5]
	s_delay_alu instid0(VALU_DEP_4) | instskip(NEXT) | instid1(VALU_DEP_4)
	v_mul_f64_e32 v[6:7], 0.5, v[10:11]
	v_mul_f64_e32 v[10:11], 0.5, v[21:22]
	s_delay_alu instid0(VALU_DEP_4) | instskip(SKIP_1) | instid1(VALU_DEP_3)
	v_mul_f64_e32 v[2:3], 0.5, v[2:3]
	s_wait_loadcnt 0x1
	v_mul_f64_e32 v[4:5], v[6:7], v[15:16]
	s_delay_alu instid0(VALU_DEP_2) | instskip(SKIP_1) | instid1(VALU_DEP_3)
	v_fma_f64 v[21:22], v[10:11], v[15:16], v[2:3]
	v_fma_f64 v[15:16], v[10:11], v[15:16], -v[2:3]
	v_fma_f64 v[23:24], v[0:1], 0.5, v[4:5]
	v_fma_f64 v[4:5], v[0:1], 0.5, -v[4:5]
	s_delay_alu instid0(VALU_DEP_4) | instskip(NEXT) | instid1(VALU_DEP_4)
	v_fma_f64 v[2:3], -v[13:14], v[6:7], v[21:22]
	v_fma_f64 v[6:7], -v[13:14], v[6:7], v[15:16]
	s_delay_alu instid0(VALU_DEP_4) | instskip(NEXT) | instid1(VALU_DEP_4)
	v_fma_f64 v[0:1], v[10:11], v[13:14], v[23:24]
	v_fma_f64 v[4:5], -v[10:11], v[13:14], v[4:5]
	v_lshlrev_b64_e32 v[10:11], 4, v[156:157]
	v_mov_b32_e32 v156, v152
	s_delay_alu instid0(VALU_DEP_2) | instskip(SKIP_1) | instid1(VALU_DEP_3)
	v_add_co_u32 v10, s1, s8, v10
	s_wait_alu 0xf1ff
	v_add_co_ci_u32_e64 v11, s1, s9, v11, s1
	global_load_b128 v[13:16], v[10:11], off offset:31296
	ds_store_b128 v166, v[0:3]
	ds_store_b128 v12, v[4:7] offset:29568
	ds_load_b128 v[0:3], v165
	ds_load_b128 v[4:7], v12 offset:28672
	s_wait_dscnt 0x0
	v_add_f64_e64 v[10:11], v[0:1], -v[4:5]
	v_add_f64_e32 v[21:22], v[2:3], v[6:7]
	v_add_f64_e64 v[2:3], v[2:3], -v[6:7]
	v_add_f64_e32 v[0:1], v[0:1], v[4:5]
	s_delay_alu instid0(VALU_DEP_4) | instskip(NEXT) | instid1(VALU_DEP_4)
	v_mul_f64_e32 v[6:7], 0.5, v[10:11]
	v_mul_f64_e32 v[10:11], 0.5, v[21:22]
	s_delay_alu instid0(VALU_DEP_4) | instskip(SKIP_1) | instid1(VALU_DEP_3)
	v_mul_f64_e32 v[2:3], 0.5, v[2:3]
	s_wait_loadcnt 0x1
	v_mul_f64_e32 v[4:5], v[6:7], v[19:20]
	s_delay_alu instid0(VALU_DEP_2) | instskip(SKIP_1) | instid1(VALU_DEP_3)
	v_fma_f64 v[21:22], v[10:11], v[19:20], v[2:3]
	v_fma_f64 v[19:20], v[10:11], v[19:20], -v[2:3]
	v_fma_f64 v[23:24], v[0:1], 0.5, v[4:5]
	v_fma_f64 v[4:5], v[0:1], 0.5, -v[4:5]
	s_delay_alu instid0(VALU_DEP_4) | instskip(NEXT) | instid1(VALU_DEP_4)
	v_fma_f64 v[2:3], -v[17:18], v[6:7], v[21:22]
	v_fma_f64 v[6:7], -v[17:18], v[6:7], v[19:20]
	s_delay_alu instid0(VALU_DEP_4) | instskip(NEXT) | instid1(VALU_DEP_4)
	v_fma_f64 v[0:1], v[10:11], v[17:18], v[23:24]
	v_fma_f64 v[4:5], -v[10:11], v[17:18], v[4:5]
	v_lshlrev_b64_e32 v[10:11], 4, v[155:156]
	v_mov_b32_e32 v155, v152
	s_delay_alu instid0(VALU_DEP_2) | instskip(SKIP_1) | instid1(VALU_DEP_3)
	v_add_co_u32 v10, s1, s8, v10
	s_wait_alu 0xf1ff
	v_add_co_ci_u32_e64 v11, s1, s9, v11, s1
	;; [unrolled: 34-line block ×3, first 2 shown]
	global_load_b128 v[13:16], v[10:11], off offset:31296
	ds_store_b128 v164, v[0:3]
	ds_store_b128 v12, v[4:7] offset:27776
	ds_load_b128 v[0:3], v67
	ds_load_b128 v[4:7], v12 offset:26880
	s_wait_dscnt 0x0
	v_add_f64_e64 v[10:11], v[0:1], -v[4:5]
	v_add_f64_e32 v[21:22], v[2:3], v[6:7]
	v_add_f64_e64 v[2:3], v[2:3], -v[6:7]
	v_add_f64_e32 v[0:1], v[0:1], v[4:5]
	s_delay_alu instid0(VALU_DEP_4) | instskip(NEXT) | instid1(VALU_DEP_4)
	v_mul_f64_e32 v[6:7], 0.5, v[10:11]
	v_mul_f64_e32 v[10:11], 0.5, v[21:22]
	s_delay_alu instid0(VALU_DEP_4) | instskip(SKIP_1) | instid1(VALU_DEP_3)
	v_mul_f64_e32 v[2:3], 0.5, v[2:3]
	s_wait_loadcnt 0x1
	v_mul_f64_e32 v[4:5], v[6:7], v[19:20]
	s_delay_alu instid0(VALU_DEP_2) | instskip(SKIP_1) | instid1(VALU_DEP_3)
	v_fma_f64 v[21:22], v[10:11], v[19:20], v[2:3]
	v_fma_f64 v[19:20], v[10:11], v[19:20], -v[2:3]
	v_fma_f64 v[23:24], v[0:1], 0.5, v[4:5]
	v_fma_f64 v[4:5], v[0:1], 0.5, -v[4:5]
	s_delay_alu instid0(VALU_DEP_4) | instskip(NEXT) | instid1(VALU_DEP_4)
	v_fma_f64 v[2:3], -v[17:18], v[6:7], v[21:22]
	v_fma_f64 v[6:7], -v[17:18], v[6:7], v[19:20]
	s_delay_alu instid0(VALU_DEP_4) | instskip(NEXT) | instid1(VALU_DEP_4)
	v_fma_f64 v[0:1], v[10:11], v[17:18], v[23:24]
	v_fma_f64 v[4:5], -v[10:11], v[17:18], v[4:5]
	v_lshlrev_b64_e32 v[10:11], 4, v[153:154]
	s_delay_alu instid0(VALU_DEP_1) | instskip(SKIP_1) | instid1(VALU_DEP_2)
	v_add_co_u32 v10, s1, s8, v10
	s_wait_alu 0xf1ff
	v_add_co_ci_u32_e64 v11, s1, s9, v11, s1
	global_load_b128 v[17:20], v[10:11], off offset:31296
	ds_store_b128 v67, v[0:3]
	ds_store_b128 v12, v[4:7] offset:26880
	ds_load_b128 v[0:3], v170
	ds_load_b128 v[4:7], v12 offset:25984
	s_wait_dscnt 0x0
	v_add_f64_e64 v[10:11], v[0:1], -v[4:5]
	v_add_f64_e32 v[21:22], v[2:3], v[6:7]
	v_add_f64_e64 v[2:3], v[2:3], -v[6:7]
	v_add_f64_e32 v[0:1], v[0:1], v[4:5]
	s_delay_alu instid0(VALU_DEP_4) | instskip(NEXT) | instid1(VALU_DEP_4)
	v_mul_f64_e32 v[6:7], 0.5, v[10:11]
	v_mul_f64_e32 v[10:11], 0.5, v[21:22]
	s_delay_alu instid0(VALU_DEP_4) | instskip(SKIP_1) | instid1(VALU_DEP_3)
	v_mul_f64_e32 v[2:3], 0.5, v[2:3]
	s_wait_loadcnt 0x1
	v_mul_f64_e32 v[4:5], v[6:7], v[15:16]
	s_delay_alu instid0(VALU_DEP_2) | instskip(SKIP_1) | instid1(VALU_DEP_3)
	v_fma_f64 v[21:22], v[10:11], v[15:16], v[2:3]
	v_fma_f64 v[15:16], v[10:11], v[15:16], -v[2:3]
	v_fma_f64 v[23:24], v[0:1], 0.5, v[4:5]
	v_fma_f64 v[4:5], v[0:1], 0.5, -v[4:5]
	s_delay_alu instid0(VALU_DEP_4) | instskip(NEXT) | instid1(VALU_DEP_4)
	v_fma_f64 v[2:3], -v[13:14], v[6:7], v[21:22]
	v_fma_f64 v[6:7], -v[13:14], v[6:7], v[15:16]
	s_delay_alu instid0(VALU_DEP_4) | instskip(NEXT) | instid1(VALU_DEP_4)
	v_fma_f64 v[0:1], v[10:11], v[13:14], v[23:24]
	v_fma_f64 v[4:5], -v[10:11], v[13:14], v[4:5]
	v_lshlrev_b64_e32 v[10:11], 4, v[150:151]
	s_delay_alu instid0(VALU_DEP_1) | instskip(SKIP_1) | instid1(VALU_DEP_2)
	v_add_co_u32 v10, s1, s8, v10
	s_wait_alu 0xf1ff
	v_add_co_ci_u32_e64 v11, s1, s9, v11, s1
	global_load_b128 v[13:16], v[10:11], off offset:31296
	ds_store_b128 v170, v[0:3]
	ds_store_b128 v12, v[4:7] offset:25984
	ds_load_b128 v[0:3], v169
	ds_load_b128 v[4:7], v12 offset:25088
	s_wait_dscnt 0x0
	v_add_f64_e64 v[10:11], v[0:1], -v[4:5]
	v_add_f64_e32 v[21:22], v[2:3], v[6:7]
	v_add_f64_e64 v[2:3], v[2:3], -v[6:7]
	v_add_f64_e32 v[0:1], v[0:1], v[4:5]
	s_delay_alu instid0(VALU_DEP_4) | instskip(NEXT) | instid1(VALU_DEP_4)
	v_mul_f64_e32 v[6:7], 0.5, v[10:11]
	v_mul_f64_e32 v[10:11], 0.5, v[21:22]
	s_delay_alu instid0(VALU_DEP_4) | instskip(SKIP_1) | instid1(VALU_DEP_3)
	v_mul_f64_e32 v[2:3], 0.5, v[2:3]
	s_wait_loadcnt 0x1
	v_mul_f64_e32 v[4:5], v[6:7], v[19:20]
	s_delay_alu instid0(VALU_DEP_2) | instskip(SKIP_1) | instid1(VALU_DEP_3)
	v_fma_f64 v[21:22], v[10:11], v[19:20], v[2:3]
	v_fma_f64 v[2:3], v[10:11], v[19:20], -v[2:3]
	v_fma_f64 v[23:24], v[0:1], 0.5, v[4:5]
	v_fma_f64 v[0:1], v[0:1], 0.5, -v[4:5]
	s_delay_alu instid0(VALU_DEP_4) | instskip(NEXT) | instid1(VALU_DEP_4)
	v_fma_f64 v[4:5], -v[17:18], v[6:7], v[21:22]
	v_fma_f64 v[19:20], -v[17:18], v[6:7], v[2:3]
	s_delay_alu instid0(VALU_DEP_4) | instskip(NEXT) | instid1(VALU_DEP_4)
	v_fma_f64 v[2:3], v[10:11], v[17:18], v[23:24]
	v_fma_f64 v[17:18], -v[10:11], v[17:18], v[0:1]
	v_lshlrev_b64_e32 v[0:1], 4, v[8:9]
	s_wait_alu 0xfffe
	s_delay_alu instid0(VALU_DEP_1) | instskip(SKIP_1) | instid1(VALU_DEP_2)
	v_add_co_u32 v0, s1, s4, v0
	s_wait_alu 0xf1ff
	v_add_co_ci_u32_e64 v1, s1, s5, v1, s1
	global_load_b128 v[6:9], v[0:1], off offset:8064
	ds_store_b128 v169, v[2:5]
	ds_store_b128 v12, v[17:20] offset:25088
	ds_load_b128 v[2:5], v168
	ds_load_b128 v[17:20], v12 offset:24192
	s_wait_dscnt 0x0
	v_add_f64_e64 v[10:11], v[2:3], -v[17:18]
	v_add_f64_e32 v[21:22], v[4:5], v[19:20]
	v_add_f64_e64 v[4:5], v[4:5], -v[19:20]
	v_add_f64_e32 v[2:3], v[2:3], v[17:18]
	s_delay_alu instid0(VALU_DEP_4) | instskip(NEXT) | instid1(VALU_DEP_4)
	v_mul_f64_e32 v[10:11], 0.5, v[10:11]
	v_mul_f64_e32 v[19:20], 0.5, v[21:22]
	s_delay_alu instid0(VALU_DEP_4) | instskip(SKIP_1) | instid1(VALU_DEP_3)
	v_mul_f64_e32 v[4:5], 0.5, v[4:5]
	s_wait_loadcnt 0x1
	v_mul_f64_e32 v[17:18], v[10:11], v[15:16]
	s_delay_alu instid0(VALU_DEP_2) | instskip(SKIP_1) | instid1(VALU_DEP_3)
	v_fma_f64 v[21:22], v[19:20], v[15:16], v[4:5]
	v_fma_f64 v[15:16], v[19:20], v[15:16], -v[4:5]
	v_fma_f64 v[23:24], v[2:3], 0.5, v[17:18]
	v_fma_f64 v[17:18], v[2:3], 0.5, -v[17:18]
	s_delay_alu instid0(VALU_DEP_4) | instskip(NEXT) | instid1(VALU_DEP_4)
	v_fma_f64 v[4:5], -v[13:14], v[10:11], v[21:22]
	v_fma_f64 v[15:16], -v[13:14], v[10:11], v[15:16]
	s_delay_alu instid0(VALU_DEP_4) | instskip(NEXT) | instid1(VALU_DEP_4)
	v_fma_f64 v[2:3], v[19:20], v[13:14], v[23:24]
	v_fma_f64 v[13:14], -v[19:20], v[13:14], v[17:18]
	global_load_b128 v[17:20], v[0:1], off offset:8960
	ds_store_b128 v168, v[2:5]
	ds_store_b128 v12, v[13:16] offset:24192
	ds_load_b128 v[2:5], v163 offset:8064
	ds_load_b128 v[13:16], v12 offset:23296
	s_wait_dscnt 0x0
	v_add_f64_e64 v[10:11], v[2:3], -v[13:14]
	v_add_f64_e32 v[21:22], v[4:5], v[15:16]
	v_add_f64_e64 v[4:5], v[4:5], -v[15:16]
	v_add_f64_e32 v[2:3], v[2:3], v[13:14]
	s_delay_alu instid0(VALU_DEP_4) | instskip(NEXT) | instid1(VALU_DEP_4)
	v_mul_f64_e32 v[10:11], 0.5, v[10:11]
	v_mul_f64_e32 v[15:16], 0.5, v[21:22]
	s_delay_alu instid0(VALU_DEP_4) | instskip(SKIP_1) | instid1(VALU_DEP_3)
	v_mul_f64_e32 v[4:5], 0.5, v[4:5]
	s_wait_loadcnt 0x1
	v_mul_f64_e32 v[13:14], v[10:11], v[8:9]
	s_delay_alu instid0(VALU_DEP_2) | instskip(SKIP_1) | instid1(VALU_DEP_3)
	v_fma_f64 v[21:22], v[15:16], v[8:9], v[4:5]
	v_fma_f64 v[8:9], v[15:16], v[8:9], -v[4:5]
	v_fma_f64 v[23:24], v[2:3], 0.5, v[13:14]
	v_fma_f64 v[13:14], v[2:3], 0.5, -v[13:14]
	s_delay_alu instid0(VALU_DEP_4) | instskip(NEXT) | instid1(VALU_DEP_4)
	v_fma_f64 v[4:5], -v[6:7], v[10:11], v[21:22]
	v_fma_f64 v[8:9], -v[6:7], v[10:11], v[8:9]
	s_delay_alu instid0(VALU_DEP_4) | instskip(NEXT) | instid1(VALU_DEP_4)
	v_fma_f64 v[2:3], v[15:16], v[6:7], v[23:24]
	v_fma_f64 v[6:7], -v[15:16], v[6:7], v[13:14]
	global_load_b128 v[13:16], v[0:1], off offset:9856
	ds_store_b128 v163, v[2:5] offset:8064
	ds_store_b128 v12, v[6:9] offset:23296
	ds_load_b128 v[2:5], v163 offset:8960
	ds_load_b128 v[6:9], v12 offset:22400
	s_wait_dscnt 0x0
	v_add_f64_e64 v[10:11], v[2:3], -v[6:7]
	v_add_f64_e32 v[21:22], v[4:5], v[8:9]
	v_add_f64_e64 v[4:5], v[4:5], -v[8:9]
	v_add_f64_e32 v[2:3], v[2:3], v[6:7]
	s_delay_alu instid0(VALU_DEP_4) | instskip(NEXT) | instid1(VALU_DEP_4)
	v_mul_f64_e32 v[8:9], 0.5, v[10:11]
	v_mul_f64_e32 v[10:11], 0.5, v[21:22]
	s_delay_alu instid0(VALU_DEP_4) | instskip(SKIP_1) | instid1(VALU_DEP_3)
	v_mul_f64_e32 v[4:5], 0.5, v[4:5]
	s_wait_loadcnt 0x1
	v_mul_f64_e32 v[6:7], v[8:9], v[19:20]
	s_delay_alu instid0(VALU_DEP_2) | instskip(SKIP_1) | instid1(VALU_DEP_3)
	v_fma_f64 v[21:22], v[10:11], v[19:20], v[4:5]
	v_fma_f64 v[19:20], v[10:11], v[19:20], -v[4:5]
	v_fma_f64 v[23:24], v[2:3], 0.5, v[6:7]
	v_fma_f64 v[6:7], v[2:3], 0.5, -v[6:7]
	s_delay_alu instid0(VALU_DEP_4) | instskip(NEXT) | instid1(VALU_DEP_4)
	v_fma_f64 v[4:5], -v[17:18], v[8:9], v[21:22]
	v_fma_f64 v[8:9], -v[17:18], v[8:9], v[19:20]
	s_delay_alu instid0(VALU_DEP_4) | instskip(NEXT) | instid1(VALU_DEP_4)
	v_fma_f64 v[2:3], v[10:11], v[17:18], v[23:24]
	v_fma_f64 v[6:7], -v[10:11], v[17:18], v[6:7]
	global_load_b128 v[17:20], v[0:1], off offset:10752
	ds_store_b128 v163, v[2:5] offset:8960
	;; [unrolled: 28-line block ×6, first 2 shown]
	ds_store_b128 v12, v[6:9] offset:18816
	ds_load_b128 v[2:5], v163 offset:13440
	ds_load_b128 v[6:9], v12 offset:17920
	s_wait_dscnt 0x0
	v_add_f64_e64 v[10:11], v[2:3], -v[6:7]
	v_add_f64_e32 v[21:22], v[4:5], v[8:9]
	v_add_f64_e64 v[4:5], v[4:5], -v[8:9]
	v_add_f64_e32 v[2:3], v[2:3], v[6:7]
	s_delay_alu instid0(VALU_DEP_4) | instskip(NEXT) | instid1(VALU_DEP_4)
	v_mul_f64_e32 v[8:9], 0.5, v[10:11]
	v_mul_f64_e32 v[10:11], 0.5, v[21:22]
	s_delay_alu instid0(VALU_DEP_4) | instskip(SKIP_1) | instid1(VALU_DEP_3)
	v_mul_f64_e32 v[4:5], 0.5, v[4:5]
	s_wait_loadcnt 0x1
	v_mul_f64_e32 v[6:7], v[8:9], v[15:16]
	s_delay_alu instid0(VALU_DEP_2) | instskip(SKIP_1) | instid1(VALU_DEP_3)
	v_fma_f64 v[21:22], v[10:11], v[15:16], v[4:5]
	v_fma_f64 v[15:16], v[10:11], v[15:16], -v[4:5]
	v_fma_f64 v[23:24], v[2:3], 0.5, v[6:7]
	v_fma_f64 v[6:7], v[2:3], 0.5, -v[6:7]
	s_delay_alu instid0(VALU_DEP_4) | instskip(NEXT) | instid1(VALU_DEP_4)
	v_fma_f64 v[4:5], -v[13:14], v[8:9], v[21:22]
	v_fma_f64 v[8:9], -v[13:14], v[8:9], v[15:16]
	s_delay_alu instid0(VALU_DEP_4) | instskip(NEXT) | instid1(VALU_DEP_4)
	v_fma_f64 v[2:3], v[10:11], v[13:14], v[23:24]
	v_fma_f64 v[6:7], -v[10:11], v[13:14], v[6:7]
	ds_store_b128 v163, v[2:5] offset:13440
	ds_store_b128 v12, v[6:9] offset:17920
	ds_load_b128 v[2:5], v163 offset:14336
	ds_load_b128 v[6:9], v12 offset:17024
	s_wait_dscnt 0x0
	v_add_f64_e64 v[10:11], v[2:3], -v[6:7]
	v_add_f64_e32 v[13:14], v[4:5], v[8:9]
	v_add_f64_e64 v[4:5], v[4:5], -v[8:9]
	v_add_f64_e32 v[2:3], v[2:3], v[6:7]
	s_delay_alu instid0(VALU_DEP_4) | instskip(NEXT) | instid1(VALU_DEP_4)
	v_mul_f64_e32 v[8:9], 0.5, v[10:11]
	v_mul_f64_e32 v[10:11], 0.5, v[13:14]
	s_delay_alu instid0(VALU_DEP_4) | instskip(SKIP_1) | instid1(VALU_DEP_3)
	v_mul_f64_e32 v[4:5], 0.5, v[4:5]
	s_wait_loadcnt 0x0
	v_mul_f64_e32 v[6:7], v[8:9], v[19:20]
	s_delay_alu instid0(VALU_DEP_2) | instskip(SKIP_1) | instid1(VALU_DEP_3)
	v_fma_f64 v[13:14], v[10:11], v[19:20], v[4:5]
	v_fma_f64 v[15:16], v[10:11], v[19:20], -v[4:5]
	v_fma_f64 v[19:20], v[2:3], 0.5, v[6:7]
	v_fma_f64 v[6:7], v[2:3], 0.5, -v[6:7]
	s_delay_alu instid0(VALU_DEP_4) | instskip(NEXT) | instid1(VALU_DEP_4)
	v_fma_f64 v[4:5], -v[17:18], v[8:9], v[13:14]
	v_fma_f64 v[8:9], -v[17:18], v[8:9], v[15:16]
	s_delay_alu instid0(VALU_DEP_4) | instskip(NEXT) | instid1(VALU_DEP_4)
	v_fma_f64 v[2:3], v[10:11], v[17:18], v[19:20]
	v_fma_f64 v[6:7], -v[10:11], v[17:18], v[6:7]
	ds_store_b128 v163, v[2:5] offset:14336
	ds_store_b128 v12, v[6:9] offset:17024
	s_and_saveexec_b32 s1, s0
	s_cbranch_execz .LBB0_25
; %bb.24:
	global_load_b128 v[0:3], v[0:1], off offset:15232
	ds_load_b128 v[4:7], v163 offset:15232
	ds_load_b128 v[8:11], v12 offset:16128
	s_wait_dscnt 0x0
	v_add_f64_e64 v[13:14], v[4:5], -v[8:9]
	v_add_f64_e32 v[15:16], v[6:7], v[10:11]
	v_add_f64_e64 v[6:7], v[6:7], -v[10:11]
	v_add_f64_e32 v[4:5], v[4:5], v[8:9]
	s_delay_alu instid0(VALU_DEP_4) | instskip(NEXT) | instid1(VALU_DEP_4)
	v_mul_f64_e32 v[10:11], 0.5, v[13:14]
	v_mul_f64_e32 v[13:14], 0.5, v[15:16]
	s_delay_alu instid0(VALU_DEP_4) | instskip(SKIP_1) | instid1(VALU_DEP_3)
	v_mul_f64_e32 v[6:7], 0.5, v[6:7]
	s_wait_loadcnt 0x0
	v_mul_f64_e32 v[8:9], v[10:11], v[2:3]
	s_delay_alu instid0(VALU_DEP_2) | instskip(SKIP_1) | instid1(VALU_DEP_3)
	v_fma_f64 v[15:16], v[13:14], v[2:3], v[6:7]
	v_fma_f64 v[2:3], v[13:14], v[2:3], -v[6:7]
	v_fma_f64 v[6:7], v[4:5], 0.5, v[8:9]
	v_fma_f64 v[17:18], v[4:5], 0.5, -v[8:9]
	s_delay_alu instid0(VALU_DEP_4) | instskip(NEXT) | instid1(VALU_DEP_4)
	v_fma_f64 v[4:5], -v[0:1], v[10:11], v[15:16]
	v_fma_f64 v[8:9], -v[0:1], v[10:11], v[2:3]
	s_delay_alu instid0(VALU_DEP_4) | instskip(NEXT) | instid1(VALU_DEP_4)
	v_fma_f64 v[2:3], v[13:14], v[0:1], v[6:7]
	v_fma_f64 v[6:7], -v[13:14], v[0:1], v[17:18]
	ds_store_b128 v163, v[2:5] offset:15232
	ds_store_b128 v12, v[6:9] offset:16128
.LBB0_25:
	s_wait_alu 0xfffe
	s_or_b32 exec_lo, exec_lo, s1
	global_wb scope:SCOPE_SE
	s_wait_dscnt 0x0
	s_barrier_signal -1
	s_barrier_wait -1
	global_inv scope:SCOPE_SE
	s_and_saveexec_b32 s0, vcc_lo
	s_cbranch_execz .LBB0_28
; %bb.26:
	v_mul_lo_u32 v2, s3, v148
	v_mul_lo_u32 v3, s2, v149
	v_mad_co_u64_u32 v[0:1], null, s2, v148, 0
	v_lshl_add_u32 v31, v144, 4, 0
	v_dual_mov_b32 v145, 0 :: v_dual_add_nc_u32 v12, 56, v144
	v_lshlrev_b64_e32 v[10:11], 4, v[146:147]
	v_add_nc_u32_e32 v26, 0x150, v144
	v_add_nc_u32_e32 v30, 0x770, v144
	v_add3_u32 v1, v1, v3, v2
	ds_load_b128 v[2:5], v31
	ds_load_b128 v[6:9], v31 offset:896
	v_mov_b32_e32 v13, v145
	v_lshlrev_b64_e32 v[14:15], 4, v[144:145]
	v_mov_b32_e32 v25, v145
	v_lshlrev_b64_e32 v[0:1], 4, v[0:1]
	v_dual_mov_b32 v27, v145 :: v_dual_add_nc_u32 v24, 0x118, v144
	s_delay_alu instid0(VALU_DEP_2) | instskip(SKIP_1) | instid1(VALU_DEP_3)
	v_add_co_u32 v0, vcc_lo, s6, v0
	s_wait_alu 0xfffd
	v_add_co_ci_u32_e32 v1, vcc_lo, s7, v1, vcc_lo
	s_delay_alu instid0(VALU_DEP_3) | instskip(NEXT) | instid1(VALU_DEP_3)
	v_lshlrev_b64_e32 v[24:25], 4, v[24:25]
	v_add_co_u32 v0, vcc_lo, v0, v10
	s_wait_alu 0xfffd
	s_delay_alu instid0(VALU_DEP_3) | instskip(SKIP_1) | instid1(VALU_DEP_3)
	v_add_co_ci_u32_e32 v1, vcc_lo, v1, v11, vcc_lo
	v_lshlrev_b64_e32 v[10:11], 4, v[12:13]
	v_add_co_u32 v12, vcc_lo, v0, v14
	s_wait_alu 0xfffd
	s_delay_alu instid0(VALU_DEP_3) | instskip(SKIP_1) | instid1(VALU_DEP_4)
	v_add_co_ci_u32_e32 v13, vcc_lo, v1, v15, vcc_lo
	v_add_nc_u32_e32 v14, 0x70, v144
	v_add_co_u32 v10, vcc_lo, v0, v10
	v_mov_b32_e32 v15, v145
	s_wait_alu 0xfffd
	v_add_co_ci_u32_e32 v11, vcc_lo, v1, v11, vcc_lo
	s_wait_dscnt 0x1
	global_store_b128 v[12:13], v[2:5], off
	s_wait_dscnt 0x0
	global_store_b128 v[10:11], v[6:9], off
	v_add_nc_u32_e32 v10, 0xa8, v144
	v_lshlrev_b64_e32 v[2:3], 4, v[14:15]
	v_dual_mov_b32 v11, v145 :: v_dual_add_nc_u32 v12, 0xe0, v144
	v_mov_b32_e32 v13, v145
	s_delay_alu instid0(VALU_DEP_3) | instskip(SKIP_1) | instid1(VALU_DEP_4)
	v_add_co_u32 v18, vcc_lo, v0, v2
	s_wait_alu 0xfffd
	v_add_co_ci_u32_e32 v19, vcc_lo, v1, v3, vcc_lo
	ds_load_b128 v[2:5], v31 offset:1792
	ds_load_b128 v[6:9], v31 offset:2688
	v_lshlrev_b64_e32 v[20:21], 4, v[10:11]
	v_lshlrev_b64_e32 v[22:23], 4, v[12:13]
	ds_load_b128 v[10:13], v31 offset:3584
	ds_load_b128 v[14:17], v31 offset:4480
	v_add_co_u32 v20, vcc_lo, v0, v20
	s_wait_alu 0xfffd
	v_add_co_ci_u32_e32 v21, vcc_lo, v1, v21, vcc_lo
	v_add_co_u32 v22, vcc_lo, v0, v22
	s_wait_alu 0xfffd
	v_add_co_ci_u32_e32 v23, vcc_lo, v1, v23, vcc_lo
	;; [unrolled: 3-line block ×3, first 2 shown]
	s_wait_dscnt 0x3
	global_store_b128 v[18:19], v[2:5], off
	s_wait_dscnt 0x2
	global_store_b128 v[20:21], v[6:9], off
	;; [unrolled: 2-line block ×4, first 2 shown]
	v_add_nc_u32_e32 v10, 0x188, v144
	v_lshlrev_b64_e32 v[2:3], 4, v[26:27]
	v_dual_mov_b32 v11, v145 :: v_dual_add_nc_u32 v12, 0x1c0, v144
	v_dual_mov_b32 v13, v145 :: v_dual_add_nc_u32 v24, 0x1f8, v144
	;; [unrolled: 1-line block ×3, first 2 shown]
	s_delay_alu instid0(VALU_DEP_4)
	v_add_co_u32 v18, vcc_lo, v0, v2
	s_wait_alu 0xfffd
	v_add_co_ci_u32_e32 v19, vcc_lo, v1, v3, vcc_lo
	ds_load_b128 v[2:5], v31 offset:5376
	ds_load_b128 v[6:9], v31 offset:6272
	v_lshlrev_b64_e32 v[20:21], 4, v[10:11]
	v_lshlrev_b64_e32 v[22:23], 4, v[12:13]
	ds_load_b128 v[10:13], v31 offset:7168
	ds_load_b128 v[14:17], v31 offset:8064
	v_lshlrev_b64_e32 v[24:25], 4, v[24:25]
	v_add_co_u32 v20, vcc_lo, v0, v20
	s_wait_alu 0xfffd
	v_add_co_ci_u32_e32 v21, vcc_lo, v1, v21, vcc_lo
	v_add_co_u32 v22, vcc_lo, v0, v22
	s_wait_alu 0xfffd
	v_add_co_ci_u32_e32 v23, vcc_lo, v1, v23, vcc_lo
	;; [unrolled: 3-line block ×3, first 2 shown]
	s_wait_dscnt 0x3
	global_store_b128 v[18:19], v[2:5], off
	s_wait_dscnt 0x2
	global_store_b128 v[20:21], v[6:9], off
	;; [unrolled: 2-line block ×4, first 2 shown]
	v_lshlrev_b64_e32 v[2:3], 4, v[26:27]
	v_dual_mov_b32 v11, v145 :: v_dual_add_nc_u32 v10, 0x268, v144
	v_dual_mov_b32 v13, v145 :: v_dual_add_nc_u32 v12, 0x2a0, v144
	;; [unrolled: 1-line block ×3, first 2 shown]
	s_delay_alu instid0(VALU_DEP_4)
	v_add_co_u32 v18, vcc_lo, v0, v2
	s_wait_alu 0xfffd
	v_add_co_ci_u32_e32 v19, vcc_lo, v1, v3, vcc_lo
	ds_load_b128 v[2:5], v31 offset:8960
	ds_load_b128 v[6:9], v31 offset:9856
	v_lshlrev_b64_e32 v[20:21], 4, v[10:11]
	v_lshlrev_b64_e32 v[22:23], 4, v[12:13]
	ds_load_b128 v[10:13], v31 offset:10752
	ds_load_b128 v[14:17], v31 offset:11648
	v_lshlrev_b64_e32 v[24:25], 4, v[24:25]
	v_add_nc_u32_e32 v26, 0x310, v144
	v_add_co_u32 v20, vcc_lo, v0, v20
	s_wait_alu 0xfffd
	v_add_co_ci_u32_e32 v21, vcc_lo, v1, v21, vcc_lo
	v_add_co_u32 v22, vcc_lo, v0, v22
	s_wait_alu 0xfffd
	v_add_co_ci_u32_e32 v23, vcc_lo, v1, v23, vcc_lo
	v_add_co_u32 v24, vcc_lo, v0, v24
	s_wait_alu 0xfffd
	v_add_co_ci_u32_e32 v25, vcc_lo, v1, v25, vcc_lo
	s_wait_dscnt 0x3
	global_store_b128 v[18:19], v[2:5], off
	s_wait_dscnt 0x2
	global_store_b128 v[20:21], v[6:9], off
	s_wait_dscnt 0x1
	global_store_b128 v[22:23], v[10:13], off
	s_wait_dscnt 0x0
	global_store_b128 v[24:25], v[14:17], off
	v_mov_b32_e32 v11, v145
	v_lshlrev_b64_e32 v[2:3], 4, v[26:27]
	v_dual_mov_b32 v13, v145 :: v_dual_add_nc_u32 v10, 0x348, v144
	v_dual_mov_b32 v25, v145 :: v_dual_add_nc_u32 v12, 0x380, v144
	v_add_nc_u32_e32 v24, 0x3b8, v144
	s_delay_alu instid0(VALU_DEP_4)
	v_add_co_u32 v18, vcc_lo, v0, v2
	s_wait_alu 0xfffd
	v_add_co_ci_u32_e32 v19, vcc_lo, v1, v3, vcc_lo
	ds_load_b128 v[2:5], v31 offset:12544
	ds_load_b128 v[6:9], v31 offset:13440
	v_lshlrev_b64_e32 v[20:21], 4, v[10:11]
	v_lshlrev_b64_e32 v[22:23], 4, v[12:13]
	ds_load_b128 v[10:13], v31 offset:14336
	ds_load_b128 v[14:17], v31 offset:15232
	v_lshlrev_b64_e32 v[24:25], 4, v[24:25]
	v_add_nc_u32_e32 v26, 0x3f0, v144
	v_add_co_u32 v20, vcc_lo, v0, v20
	s_wait_alu 0xfffd
	v_add_co_ci_u32_e32 v21, vcc_lo, v1, v21, vcc_lo
	v_add_co_u32 v22, vcc_lo, v0, v22
	s_wait_alu 0xfffd
	v_add_co_ci_u32_e32 v23, vcc_lo, v1, v23, vcc_lo
	v_add_co_u32 v24, vcc_lo, v0, v24
	s_wait_alu 0xfffd
	v_add_co_ci_u32_e32 v25, vcc_lo, v1, v25, vcc_lo
	s_wait_dscnt 0x3
	global_store_b128 v[18:19], v[2:5], off
	s_wait_dscnt 0x2
	global_store_b128 v[20:21], v[6:9], off
	s_wait_dscnt 0x1
	global_store_b128 v[22:23], v[10:13], off
	s_wait_dscnt 0x0
	global_store_b128 v[24:25], v[14:17], off
	v_mov_b32_e32 v13, v145
	v_lshlrev_b64_e32 v[2:3], 4, v[26:27]
	v_dual_mov_b32 v25, v145 :: v_dual_add_nc_u32 v10, 0x428, v144
	v_dual_mov_b32 v11, v145 :: v_dual_add_nc_u32 v12, 0x460, v144
	v_add_nc_u32_e32 v24, 0x498, v144
	;; [unrolled: 34-line block ×3, first 2 shown]
	s_delay_alu instid0(VALU_DEP_4)
	v_add_co_u32 v18, vcc_lo, v0, v2
	s_wait_alu 0xfffd
	v_add_co_ci_u32_e32 v19, vcc_lo, v1, v3, vcc_lo
	ds_load_b128 v[2:5], v31 offset:19712
	ds_load_b128 v[6:9], v31 offset:20608
	v_lshlrev_b64_e32 v[20:21], 4, v[10:11]
	v_lshlrev_b64_e32 v[22:23], 4, v[12:13]
	ds_load_b128 v[10:13], v31 offset:21504
	ds_load_b128 v[14:17], v31 offset:22400
	v_lshlrev_b64_e32 v[24:25], 4, v[24:25]
	v_add_nc_u32_e32 v26, 0x5b0, v144
	v_add_co_u32 v20, vcc_lo, v0, v20
	s_wait_alu 0xfffd
	v_add_co_ci_u32_e32 v21, vcc_lo, v1, v21, vcc_lo
	v_add_co_u32 v22, vcc_lo, v0, v22
	s_wait_alu 0xfffd
	v_add_co_ci_u32_e32 v23, vcc_lo, v1, v23, vcc_lo
	;; [unrolled: 3-line block ×3, first 2 shown]
	s_wait_dscnt 0x3
	global_store_b128 v[18:19], v[2:5], off
	s_wait_dscnt 0x2
	global_store_b128 v[20:21], v[6:9], off
	;; [unrolled: 2-line block ×4, first 2 shown]
	v_lshlrev_b64_e32 v[2:3], 4, v[26:27]
	v_dual_mov_b32 v11, v145 :: v_dual_add_nc_u32 v10, 0x5e8, v144
	v_dual_mov_b32 v13, v145 :: v_dual_add_nc_u32 v12, 0x620, v144
	v_add_nc_u32_e32 v24, 0x658, v144
	s_delay_alu instid0(VALU_DEP_4)
	v_add_co_u32 v18, vcc_lo, v0, v2
	s_wait_alu 0xfffd
	v_add_co_ci_u32_e32 v19, vcc_lo, v1, v3, vcc_lo
	ds_load_b128 v[2:5], v31 offset:23296
	ds_load_b128 v[6:9], v31 offset:24192
	v_lshlrev_b64_e32 v[20:21], 4, v[10:11]
	v_lshlrev_b64_e32 v[22:23], 4, v[12:13]
	ds_load_b128 v[10:13], v31 offset:25088
	ds_load_b128 v[14:17], v31 offset:25984
	v_dual_mov_b32 v25, v145 :: v_dual_add_nc_u32 v26, 0x690, v144
	v_add_co_u32 v20, vcc_lo, v0, v20
	s_delay_alu instid0(VALU_DEP_2)
	v_lshlrev_b64_e32 v[24:25], 4, v[24:25]
	s_wait_alu 0xfffd
	v_add_co_ci_u32_e32 v21, vcc_lo, v1, v21, vcc_lo
	v_add_co_u32 v22, vcc_lo, v0, v22
	s_wait_alu 0xfffd
	v_add_co_ci_u32_e32 v23, vcc_lo, v1, v23, vcc_lo
	v_add_co_u32 v24, vcc_lo, v0, v24
	s_wait_alu 0xfffd
	v_add_co_ci_u32_e32 v25, vcc_lo, v1, v25, vcc_lo
	s_wait_dscnt 0x3
	global_store_b128 v[18:19], v[2:5], off
	s_wait_dscnt 0x2
	global_store_b128 v[20:21], v[6:9], off
	;; [unrolled: 2-line block ×4, first 2 shown]
	v_dual_mov_b32 v11, v145 :: v_dual_add_nc_u32 v10, 0x6c8, v144
	v_lshlrev_b64_e32 v[2:3], 4, v[26:27]
	v_dual_mov_b32 v13, v145 :: v_dual_add_nc_u32 v12, 0x700, v144
	v_add_nc_u32_e32 v18, 0x738, v144
	s_delay_alu instid0(VALU_DEP_4) | instskip(SKIP_4) | instid1(VALU_DEP_4)
	v_lshlrev_b64_e32 v[10:11], 4, v[10:11]
	v_mov_b32_e32 v19, v145
	v_add_co_u32 v22, vcc_lo, v0, v2
	s_wait_alu 0xfffd
	v_add_co_ci_u32_e32 v23, vcc_lo, v1, v3, vcc_lo
	v_add_co_u32 v24, vcc_lo, v0, v10
	ds_load_b128 v[2:5], v31 offset:26880
	ds_load_b128 v[6:9], v31 offset:27776
	s_wait_alu 0xfffd
	v_add_co_ci_u32_e32 v25, vcc_lo, v1, v11, vcc_lo
	v_lshlrev_b64_e32 v[26:27], 4, v[12:13]
	ds_load_b128 v[10:13], v31 offset:28672
	ds_load_b128 v[14:17], v31 offset:29568
	v_lshlrev_b64_e32 v[28:29], 4, v[18:19]
	ds_load_b128 v[18:21], v31 offset:30464
	v_mov_b32_e32 v31, v145
	v_add_co_u32 v26, vcc_lo, v0, v26
	s_wait_alu 0xfffd
	v_add_co_ci_u32_e32 v27, vcc_lo, v1, v27, vcc_lo
	s_delay_alu instid0(VALU_DEP_3) | instskip(SKIP_3) | instid1(VALU_DEP_3)
	v_lshlrev_b64_e32 v[30:31], 4, v[30:31]
	v_add_co_u32 v28, vcc_lo, v0, v28
	s_wait_alu 0xfffd
	v_add_co_ci_u32_e32 v29, vcc_lo, v1, v29, vcc_lo
	v_add_co_u32 v30, vcc_lo, v0, v30
	s_wait_alu 0xfffd
	v_add_co_ci_u32_e32 v31, vcc_lo, v1, v31, vcc_lo
	v_cmp_eq_u32_e32 vcc_lo, 55, v144
	s_wait_dscnt 0x4
	global_store_b128 v[22:23], v[2:5], off
	s_wait_dscnt 0x3
	global_store_b128 v[24:25], v[6:9], off
	;; [unrolled: 2-line block ×5, first 2 shown]
	s_and_b32 exec_lo, exec_lo, vcc_lo
	s_cbranch_execz .LBB0_28
; %bb.27:
	ds_load_b128 v[2:5], v145 offset:31360
	s_wait_dscnt 0x0
	global_store_b128 v[0:1], v[2:5], off offset:31360
.LBB0_28:
	s_nop 0
	s_sendmsg sendmsg(MSG_DEALLOC_VGPRS)
	s_endpgm
	.section	.rodata,"a",@progbits
	.p2align	6, 0x0
	.amdhsa_kernel fft_rtc_fwd_len1960_factors_4_7_2_7_5_wgs_56_tpt_56_halfLds_dp_op_CI_CI_unitstride_sbrr_R2C_dirReg
		.amdhsa_group_segment_fixed_size 0
		.amdhsa_private_segment_fixed_size 0
		.amdhsa_kernarg_size 104
		.amdhsa_user_sgpr_count 2
		.amdhsa_user_sgpr_dispatch_ptr 0
		.amdhsa_user_sgpr_queue_ptr 0
		.amdhsa_user_sgpr_kernarg_segment_ptr 1
		.amdhsa_user_sgpr_dispatch_id 0
		.amdhsa_user_sgpr_private_segment_size 0
		.amdhsa_wavefront_size32 1
		.amdhsa_uses_dynamic_stack 0
		.amdhsa_enable_private_segment 0
		.amdhsa_system_sgpr_workgroup_id_x 1
		.amdhsa_system_sgpr_workgroup_id_y 0
		.amdhsa_system_sgpr_workgroup_id_z 0
		.amdhsa_system_sgpr_workgroup_info 0
		.amdhsa_system_vgpr_workitem_id 0
		.amdhsa_next_free_vgpr 229
		.amdhsa_next_free_sgpr 39
		.amdhsa_reserve_vcc 1
		.amdhsa_float_round_mode_32 0
		.amdhsa_float_round_mode_16_64 0
		.amdhsa_float_denorm_mode_32 3
		.amdhsa_float_denorm_mode_16_64 3
		.amdhsa_fp16_overflow 0
		.amdhsa_workgroup_processor_mode 1
		.amdhsa_memory_ordered 1
		.amdhsa_forward_progress 0
		.amdhsa_round_robin_scheduling 0
		.amdhsa_exception_fp_ieee_invalid_op 0
		.amdhsa_exception_fp_denorm_src 0
		.amdhsa_exception_fp_ieee_div_zero 0
		.amdhsa_exception_fp_ieee_overflow 0
		.amdhsa_exception_fp_ieee_underflow 0
		.amdhsa_exception_fp_ieee_inexact 0
		.amdhsa_exception_int_div_zero 0
	.end_amdhsa_kernel
	.text
.Lfunc_end0:
	.size	fft_rtc_fwd_len1960_factors_4_7_2_7_5_wgs_56_tpt_56_halfLds_dp_op_CI_CI_unitstride_sbrr_R2C_dirReg, .Lfunc_end0-fft_rtc_fwd_len1960_factors_4_7_2_7_5_wgs_56_tpt_56_halfLds_dp_op_CI_CI_unitstride_sbrr_R2C_dirReg
                                        ; -- End function
	.section	.AMDGPU.csdata,"",@progbits
; Kernel info:
; codeLenInByte = 28812
; NumSgprs: 41
; NumVgprs: 229
; ScratchSize: 0
; MemoryBound: 0
; FloatMode: 240
; IeeeMode: 1
; LDSByteSize: 0 bytes/workgroup (compile time only)
; SGPRBlocks: 5
; VGPRBlocks: 28
; NumSGPRsForWavesPerEU: 41
; NumVGPRsForWavesPerEU: 229
; Occupancy: 6
; WaveLimiterHint : 1
; COMPUTE_PGM_RSRC2:SCRATCH_EN: 0
; COMPUTE_PGM_RSRC2:USER_SGPR: 2
; COMPUTE_PGM_RSRC2:TRAP_HANDLER: 0
; COMPUTE_PGM_RSRC2:TGID_X_EN: 1
; COMPUTE_PGM_RSRC2:TGID_Y_EN: 0
; COMPUTE_PGM_RSRC2:TGID_Z_EN: 0
; COMPUTE_PGM_RSRC2:TIDIG_COMP_CNT: 0
	.text
	.p2alignl 7, 3214868480
	.fill 96, 4, 3214868480
	.type	__hip_cuid_2afba8c1a1b3fc61,@object ; @__hip_cuid_2afba8c1a1b3fc61
	.section	.bss,"aw",@nobits
	.globl	__hip_cuid_2afba8c1a1b3fc61
__hip_cuid_2afba8c1a1b3fc61:
	.byte	0                               ; 0x0
	.size	__hip_cuid_2afba8c1a1b3fc61, 1

	.ident	"AMD clang version 19.0.0git (https://github.com/RadeonOpenCompute/llvm-project roc-6.4.0 25133 c7fe45cf4b819c5991fe208aaa96edf142730f1d)"
	.section	".note.GNU-stack","",@progbits
	.addrsig
	.addrsig_sym __hip_cuid_2afba8c1a1b3fc61
	.amdgpu_metadata
---
amdhsa.kernels:
  - .args:
      - .actual_access:  read_only
        .address_space:  global
        .offset:         0
        .size:           8
        .value_kind:     global_buffer
      - .offset:         8
        .size:           8
        .value_kind:     by_value
      - .actual_access:  read_only
        .address_space:  global
        .offset:         16
        .size:           8
        .value_kind:     global_buffer
      - .actual_access:  read_only
        .address_space:  global
        .offset:         24
        .size:           8
        .value_kind:     global_buffer
      - .actual_access:  read_only
        .address_space:  global
        .offset:         32
        .size:           8
        .value_kind:     global_buffer
      - .offset:         40
        .size:           8
        .value_kind:     by_value
      - .actual_access:  read_only
        .address_space:  global
        .offset:         48
        .size:           8
        .value_kind:     global_buffer
      - .actual_access:  read_only
        .address_space:  global
        .offset:         56
        .size:           8
        .value_kind:     global_buffer
      - .offset:         64
        .size:           4
        .value_kind:     by_value
      - .actual_access:  read_only
        .address_space:  global
        .offset:         72
        .size:           8
        .value_kind:     global_buffer
      - .actual_access:  read_only
        .address_space:  global
        .offset:         80
        .size:           8
        .value_kind:     global_buffer
      - .actual_access:  read_only
        .address_space:  global
        .offset:         88
        .size:           8
        .value_kind:     global_buffer
      - .actual_access:  write_only
        .address_space:  global
        .offset:         96
        .size:           8
        .value_kind:     global_buffer
    .group_segment_fixed_size: 0
    .kernarg_segment_align: 8
    .kernarg_segment_size: 104
    .language:       OpenCL C
    .language_version:
      - 2
      - 0
    .max_flat_workgroup_size: 56
    .name:           fft_rtc_fwd_len1960_factors_4_7_2_7_5_wgs_56_tpt_56_halfLds_dp_op_CI_CI_unitstride_sbrr_R2C_dirReg
    .private_segment_fixed_size: 0
    .sgpr_count:     41
    .sgpr_spill_count: 0
    .symbol:         fft_rtc_fwd_len1960_factors_4_7_2_7_5_wgs_56_tpt_56_halfLds_dp_op_CI_CI_unitstride_sbrr_R2C_dirReg.kd
    .uniform_work_group_size: 1
    .uses_dynamic_stack: false
    .vgpr_count:     229
    .vgpr_spill_count: 0
    .wavefront_size: 32
    .workgroup_processor_mode: 1
amdhsa.target:   amdgcn-amd-amdhsa--gfx1201
amdhsa.version:
  - 1
  - 2
...

	.end_amdgpu_metadata
